;; amdgpu-corpus repo=ROCm/composable_kernel kind=compiled arch=gfx1100 opt=O3
	.text
	.amdgcn_target "amdgcn-amd-amdhsa--gfx1100"
	.amdhsa_code_object_version 6
	.section	.text._ZN2ckL12flush_icacheEv,"axG",@progbits,_ZN2ckL12flush_icacheEv,comdat
	.globl	_ZN2ckL12flush_icacheEv         ; -- Begin function _ZN2ckL12flush_icacheEv
	.p2align	8
	.type	_ZN2ckL12flush_icacheEv,@function
_ZN2ckL12flush_icacheEv:                ; @_ZN2ckL12flush_icacheEv
; %bb.0:
	;;#ASMSTART
	s_icache_inv 
	s_nop 0 
	s_nop 0 
	;; [unrolled: 1-line block ×16, first 2 shown]
	
	;;#ASMEND
	s_endpgm
	.section	.rodata,"a",@progbits
	.p2align	6, 0x0
	.amdhsa_kernel _ZN2ckL12flush_icacheEv
		.amdhsa_group_segment_fixed_size 0
		.amdhsa_private_segment_fixed_size 0
		.amdhsa_kernarg_size 0
		.amdhsa_user_sgpr_count 15
		.amdhsa_user_sgpr_dispatch_ptr 0
		.amdhsa_user_sgpr_queue_ptr 0
		.amdhsa_user_sgpr_kernarg_segment_ptr 0
		.amdhsa_user_sgpr_dispatch_id 0
		.amdhsa_user_sgpr_private_segment_size 0
		.amdhsa_wavefront_size32 1
		.amdhsa_uses_dynamic_stack 0
		.amdhsa_enable_private_segment 0
		.amdhsa_system_sgpr_workgroup_id_x 1
		.amdhsa_system_sgpr_workgroup_id_y 0
		.amdhsa_system_sgpr_workgroup_id_z 0
		.amdhsa_system_sgpr_workgroup_info 0
		.amdhsa_system_vgpr_workitem_id 0
		.amdhsa_next_free_vgpr 1
		.amdhsa_next_free_sgpr 1
		.amdhsa_reserve_vcc 0
		.amdhsa_float_round_mode_32 0
		.amdhsa_float_round_mode_16_64 0
		.amdhsa_float_denorm_mode_32 3
		.amdhsa_float_denorm_mode_16_64 3
		.amdhsa_dx10_clamp 1
		.amdhsa_ieee_mode 1
		.amdhsa_fp16_overflow 0
		.amdhsa_workgroup_processor_mode 1
		.amdhsa_memory_ordered 1
		.amdhsa_forward_progress 0
		.amdhsa_shared_vgpr_count 0
		.amdhsa_exception_fp_ieee_invalid_op 0
		.amdhsa_exception_fp_denorm_src 0
		.amdhsa_exception_fp_ieee_div_zero 0
		.amdhsa_exception_fp_ieee_overflow 0
		.amdhsa_exception_fp_ieee_underflow 0
		.amdhsa_exception_fp_ieee_inexact 0
		.amdhsa_exception_int_div_zero 0
	.end_amdhsa_kernel
	.section	.text._ZN2ckL12flush_icacheEv,"axG",@progbits,_ZN2ckL12flush_icacheEv,comdat
.Lfunc_end0:
	.size	_ZN2ckL12flush_icacheEv, .Lfunc_end0-_ZN2ckL12flush_icacheEv
                                        ; -- End function
	.section	.AMDGPU.csdata,"",@progbits
; Kernel info:
; codeLenInByte = 344
; NumSgprs: 0
; NumVgprs: 0
; ScratchSize: 0
; MemoryBound: 0
; FloatMode: 240
; IeeeMode: 1
; LDSByteSize: 0 bytes/workgroup (compile time only)
; SGPRBlocks: 0
; VGPRBlocks: 0
; NumSGPRsForWavesPerEU: 1
; NumVGPRsForWavesPerEU: 1
; Occupancy: 16
; WaveLimiterHint : 0
; COMPUTE_PGM_RSRC2:SCRATCH_EN: 0
; COMPUTE_PGM_RSRC2:USER_SGPR: 15
; COMPUTE_PGM_RSRC2:TRAP_HANDLER: 0
; COMPUTE_PGM_RSRC2:TGID_X_EN: 1
; COMPUTE_PGM_RSRC2:TGID_Y_EN: 0
; COMPUTE_PGM_RSRC2:TGID_Z_EN: 0
; COMPUTE_PGM_RSRC2:TIDIG_COMP_CNT: 0
	.section	.text._ZN2ck27kernel_gemm_xdl_cshuffle_v1INS_43GridwiseGemm_k0mk1_k0nk1_mn_xdl_cshuffle_v1INS_13tensor_layout4gemm8RowMajorENS3_11ColumnMajorES4_NS_9f8_fnuz_tEDF16_fDF16_DF16_NS_16tensor_operation12element_wise11PassThroughES9_S9_LNS7_6device18GemmSpecializationE0ELNS_25InMemoryDataOperationEnumE0ELi1ELi256ELi256ELi128ELi32ELi8ELi8ELi16ELi16ELi8ELi4ENS_8SequenceIJLi4ELi64ELi1EEEENSD_IJLi1ELi0ELi2EEEESF_Li2ELi8ELi8ELb0ELi1ESE_SF_SF_Li2ELi8ELi8ELb0ELi1ELi1ELi1ENSD_IJLi1ELi32ELi1ELi8EEEELi4ELNS_13LoopSchedulerE0ELNS_15PipelineVersionE0EDF16_DF16_EELb1EEEvNT_8ArgumentE,"axG",@progbits,_ZN2ck27kernel_gemm_xdl_cshuffle_v1INS_43GridwiseGemm_k0mk1_k0nk1_mn_xdl_cshuffle_v1INS_13tensor_layout4gemm8RowMajorENS3_11ColumnMajorES4_NS_9f8_fnuz_tEDF16_fDF16_DF16_NS_16tensor_operation12element_wise11PassThroughES9_S9_LNS7_6device18GemmSpecializationE0ELNS_25InMemoryDataOperationEnumE0ELi1ELi256ELi256ELi128ELi32ELi8ELi8ELi16ELi16ELi8ELi4ENS_8SequenceIJLi4ELi64ELi1EEEENSD_IJLi1ELi0ELi2EEEESF_Li2ELi8ELi8ELb0ELi1ESE_SF_SF_Li2ELi8ELi8ELb0ELi1ELi1ELi1ENSD_IJLi1ELi32ELi1ELi8EEEELi4ELNS_13LoopSchedulerE0ELNS_15PipelineVersionE0EDF16_DF16_EELb1EEEvNT_8ArgumentE,comdat
	.protected	_ZN2ck27kernel_gemm_xdl_cshuffle_v1INS_43GridwiseGemm_k0mk1_k0nk1_mn_xdl_cshuffle_v1INS_13tensor_layout4gemm8RowMajorENS3_11ColumnMajorES4_NS_9f8_fnuz_tEDF16_fDF16_DF16_NS_16tensor_operation12element_wise11PassThroughES9_S9_LNS7_6device18GemmSpecializationE0ELNS_25InMemoryDataOperationEnumE0ELi1ELi256ELi256ELi128ELi32ELi8ELi8ELi16ELi16ELi8ELi4ENS_8SequenceIJLi4ELi64ELi1EEEENSD_IJLi1ELi0ELi2EEEESF_Li2ELi8ELi8ELb0ELi1ESE_SF_SF_Li2ELi8ELi8ELb0ELi1ELi1ELi1ENSD_IJLi1ELi32ELi1ELi8EEEELi4ELNS_13LoopSchedulerE0ELNS_15PipelineVersionE0EDF16_DF16_EELb1EEEvNT_8ArgumentE ; -- Begin function _ZN2ck27kernel_gemm_xdl_cshuffle_v1INS_43GridwiseGemm_k0mk1_k0nk1_mn_xdl_cshuffle_v1INS_13tensor_layout4gemm8RowMajorENS3_11ColumnMajorES4_NS_9f8_fnuz_tEDF16_fDF16_DF16_NS_16tensor_operation12element_wise11PassThroughES9_S9_LNS7_6device18GemmSpecializationE0ELNS_25InMemoryDataOperationEnumE0ELi1ELi256ELi256ELi128ELi32ELi8ELi8ELi16ELi16ELi8ELi4ENS_8SequenceIJLi4ELi64ELi1EEEENSD_IJLi1ELi0ELi2EEEESF_Li2ELi8ELi8ELb0ELi1ESE_SF_SF_Li2ELi8ELi8ELb0ELi1ELi1ELi1ENSD_IJLi1ELi32ELi1ELi8EEEELi4ELNS_13LoopSchedulerE0ELNS_15PipelineVersionE0EDF16_DF16_EELb1EEEvNT_8ArgumentE
	.globl	_ZN2ck27kernel_gemm_xdl_cshuffle_v1INS_43GridwiseGemm_k0mk1_k0nk1_mn_xdl_cshuffle_v1INS_13tensor_layout4gemm8RowMajorENS3_11ColumnMajorES4_NS_9f8_fnuz_tEDF16_fDF16_DF16_NS_16tensor_operation12element_wise11PassThroughES9_S9_LNS7_6device18GemmSpecializationE0ELNS_25InMemoryDataOperationEnumE0ELi1ELi256ELi256ELi128ELi32ELi8ELi8ELi16ELi16ELi8ELi4ENS_8SequenceIJLi4ELi64ELi1EEEENSD_IJLi1ELi0ELi2EEEESF_Li2ELi8ELi8ELb0ELi1ESE_SF_SF_Li2ELi8ELi8ELb0ELi1ELi1ELi1ENSD_IJLi1ELi32ELi1ELi8EEEELi4ELNS_13LoopSchedulerE0ELNS_15PipelineVersionE0EDF16_DF16_EELb1EEEvNT_8ArgumentE
	.p2align	8
	.type	_ZN2ck27kernel_gemm_xdl_cshuffle_v1INS_43GridwiseGemm_k0mk1_k0nk1_mn_xdl_cshuffle_v1INS_13tensor_layout4gemm8RowMajorENS3_11ColumnMajorES4_NS_9f8_fnuz_tEDF16_fDF16_DF16_NS_16tensor_operation12element_wise11PassThroughES9_S9_LNS7_6device18GemmSpecializationE0ELNS_25InMemoryDataOperationEnumE0ELi1ELi256ELi256ELi128ELi32ELi8ELi8ELi16ELi16ELi8ELi4ENS_8SequenceIJLi4ELi64ELi1EEEENSD_IJLi1ELi0ELi2EEEESF_Li2ELi8ELi8ELb0ELi1ESE_SF_SF_Li2ELi8ELi8ELb0ELi1ELi1ELi1ENSD_IJLi1ELi32ELi1ELi8EEEELi4ELNS_13LoopSchedulerE0ELNS_15PipelineVersionE0EDF16_DF16_EELb1EEEvNT_8ArgumentE,@function
_ZN2ck27kernel_gemm_xdl_cshuffle_v1INS_43GridwiseGemm_k0mk1_k0nk1_mn_xdl_cshuffle_v1INS_13tensor_layout4gemm8RowMajorENS3_11ColumnMajorES4_NS_9f8_fnuz_tEDF16_fDF16_DF16_NS_16tensor_operation12element_wise11PassThroughES9_S9_LNS7_6device18GemmSpecializationE0ELNS_25InMemoryDataOperationEnumE0ELi1ELi256ELi256ELi128ELi32ELi8ELi8ELi16ELi16ELi8ELi4ENS_8SequenceIJLi4ELi64ELi1EEEENSD_IJLi1ELi0ELi2EEEESF_Li2ELi8ELi8ELb0ELi1ESE_SF_SF_Li2ELi8ELi8ELb0ELi1ELi1ELi1ENSD_IJLi1ELi32ELi1ELi8EEEELi4ELNS_13LoopSchedulerE0ELNS_15PipelineVersionE0EDF16_DF16_EELb1EEEvNT_8ArgumentE: ; @_ZN2ck27kernel_gemm_xdl_cshuffle_v1INS_43GridwiseGemm_k0mk1_k0nk1_mn_xdl_cshuffle_v1INS_13tensor_layout4gemm8RowMajorENS3_11ColumnMajorES4_NS_9f8_fnuz_tEDF16_fDF16_DF16_NS_16tensor_operation12element_wise11PassThroughES9_S9_LNS7_6device18GemmSpecializationE0ELNS_25InMemoryDataOperationEnumE0ELi1ELi256ELi256ELi128ELi32ELi8ELi8ELi16ELi16ELi8ELi4ENS_8SequenceIJLi4ELi64ELi1EEEENSD_IJLi1ELi0ELi2EEEESF_Li2ELi8ELi8ELb0ELi1ESE_SF_SF_Li2ELi8ELi8ELb0ELi1ELi1ELi1ENSD_IJLi1ELi32ELi1ELi8EEEELi4ELNS_13LoopSchedulerE0ELNS_15PipelineVersionE0EDF16_DF16_EELb1EEEvNT_8ArgumentE
; %bb.0:
	s_endpgm
	.section	.rodata,"a",@progbits
	.p2align	6, 0x0
	.amdhsa_kernel _ZN2ck27kernel_gemm_xdl_cshuffle_v1INS_43GridwiseGemm_k0mk1_k0nk1_mn_xdl_cshuffle_v1INS_13tensor_layout4gemm8RowMajorENS3_11ColumnMajorES4_NS_9f8_fnuz_tEDF16_fDF16_DF16_NS_16tensor_operation12element_wise11PassThroughES9_S9_LNS7_6device18GemmSpecializationE0ELNS_25InMemoryDataOperationEnumE0ELi1ELi256ELi256ELi128ELi32ELi8ELi8ELi16ELi16ELi8ELi4ENS_8SequenceIJLi4ELi64ELi1EEEENSD_IJLi1ELi0ELi2EEEESF_Li2ELi8ELi8ELb0ELi1ESE_SF_SF_Li2ELi8ELi8ELb0ELi1ELi1ELi1ENSD_IJLi1ELi32ELi1ELi8EEEELi4ELNS_13LoopSchedulerE0ELNS_15PipelineVersionE0EDF16_DF16_EELb1EEEvNT_8ArgumentE
		.amdhsa_group_segment_fixed_size 0
		.amdhsa_private_segment_fixed_size 0
		.amdhsa_kernarg_size 96
		.amdhsa_user_sgpr_count 15
		.amdhsa_user_sgpr_dispatch_ptr 0
		.amdhsa_user_sgpr_queue_ptr 0
		.amdhsa_user_sgpr_kernarg_segment_ptr 1
		.amdhsa_user_sgpr_dispatch_id 0
		.amdhsa_user_sgpr_private_segment_size 0
		.amdhsa_wavefront_size32 1
		.amdhsa_uses_dynamic_stack 0
		.amdhsa_enable_private_segment 0
		.amdhsa_system_sgpr_workgroup_id_x 1
		.amdhsa_system_sgpr_workgroup_id_y 0
		.amdhsa_system_sgpr_workgroup_id_z 0
		.amdhsa_system_sgpr_workgroup_info 0
		.amdhsa_system_vgpr_workitem_id 0
		.amdhsa_next_free_vgpr 1
		.amdhsa_next_free_sgpr 1
		.amdhsa_reserve_vcc 0
		.amdhsa_float_round_mode_32 0
		.amdhsa_float_round_mode_16_64 0
		.amdhsa_float_denorm_mode_32 3
		.amdhsa_float_denorm_mode_16_64 3
		.amdhsa_dx10_clamp 1
		.amdhsa_ieee_mode 1
		.amdhsa_fp16_overflow 0
		.amdhsa_workgroup_processor_mode 1
		.amdhsa_memory_ordered 1
		.amdhsa_forward_progress 0
		.amdhsa_shared_vgpr_count 0
		.amdhsa_exception_fp_ieee_invalid_op 0
		.amdhsa_exception_fp_denorm_src 0
		.amdhsa_exception_fp_ieee_div_zero 0
		.amdhsa_exception_fp_ieee_overflow 0
		.amdhsa_exception_fp_ieee_underflow 0
		.amdhsa_exception_fp_ieee_inexact 0
		.amdhsa_exception_int_div_zero 0
	.end_amdhsa_kernel
	.section	.text._ZN2ck27kernel_gemm_xdl_cshuffle_v1INS_43GridwiseGemm_k0mk1_k0nk1_mn_xdl_cshuffle_v1INS_13tensor_layout4gemm8RowMajorENS3_11ColumnMajorES4_NS_9f8_fnuz_tEDF16_fDF16_DF16_NS_16tensor_operation12element_wise11PassThroughES9_S9_LNS7_6device18GemmSpecializationE0ELNS_25InMemoryDataOperationEnumE0ELi1ELi256ELi256ELi128ELi32ELi8ELi8ELi16ELi16ELi8ELi4ENS_8SequenceIJLi4ELi64ELi1EEEENSD_IJLi1ELi0ELi2EEEESF_Li2ELi8ELi8ELb0ELi1ESE_SF_SF_Li2ELi8ELi8ELb0ELi1ELi1ELi1ENSD_IJLi1ELi32ELi1ELi8EEEELi4ELNS_13LoopSchedulerE0ELNS_15PipelineVersionE0EDF16_DF16_EELb1EEEvNT_8ArgumentE,"axG",@progbits,_ZN2ck27kernel_gemm_xdl_cshuffle_v1INS_43GridwiseGemm_k0mk1_k0nk1_mn_xdl_cshuffle_v1INS_13tensor_layout4gemm8RowMajorENS3_11ColumnMajorES4_NS_9f8_fnuz_tEDF16_fDF16_DF16_NS_16tensor_operation12element_wise11PassThroughES9_S9_LNS7_6device18GemmSpecializationE0ELNS_25InMemoryDataOperationEnumE0ELi1ELi256ELi256ELi128ELi32ELi8ELi8ELi16ELi16ELi8ELi4ENS_8SequenceIJLi4ELi64ELi1EEEENSD_IJLi1ELi0ELi2EEEESF_Li2ELi8ELi8ELb0ELi1ESE_SF_SF_Li2ELi8ELi8ELb0ELi1ELi1ELi1ENSD_IJLi1ELi32ELi1ELi8EEEELi4ELNS_13LoopSchedulerE0ELNS_15PipelineVersionE0EDF16_DF16_EELb1EEEvNT_8ArgumentE,comdat
.Lfunc_end1:
	.size	_ZN2ck27kernel_gemm_xdl_cshuffle_v1INS_43GridwiseGemm_k0mk1_k0nk1_mn_xdl_cshuffle_v1INS_13tensor_layout4gemm8RowMajorENS3_11ColumnMajorES4_NS_9f8_fnuz_tEDF16_fDF16_DF16_NS_16tensor_operation12element_wise11PassThroughES9_S9_LNS7_6device18GemmSpecializationE0ELNS_25InMemoryDataOperationEnumE0ELi1ELi256ELi256ELi128ELi32ELi8ELi8ELi16ELi16ELi8ELi4ENS_8SequenceIJLi4ELi64ELi1EEEENSD_IJLi1ELi0ELi2EEEESF_Li2ELi8ELi8ELb0ELi1ESE_SF_SF_Li2ELi8ELi8ELb0ELi1ELi1ELi1ENSD_IJLi1ELi32ELi1ELi8EEEELi4ELNS_13LoopSchedulerE0ELNS_15PipelineVersionE0EDF16_DF16_EELb1EEEvNT_8ArgumentE, .Lfunc_end1-_ZN2ck27kernel_gemm_xdl_cshuffle_v1INS_43GridwiseGemm_k0mk1_k0nk1_mn_xdl_cshuffle_v1INS_13tensor_layout4gemm8RowMajorENS3_11ColumnMajorES4_NS_9f8_fnuz_tEDF16_fDF16_DF16_NS_16tensor_operation12element_wise11PassThroughES9_S9_LNS7_6device18GemmSpecializationE0ELNS_25InMemoryDataOperationEnumE0ELi1ELi256ELi256ELi128ELi32ELi8ELi8ELi16ELi16ELi8ELi4ENS_8SequenceIJLi4ELi64ELi1EEEENSD_IJLi1ELi0ELi2EEEESF_Li2ELi8ELi8ELb0ELi1ESE_SF_SF_Li2ELi8ELi8ELb0ELi1ELi1ELi1ENSD_IJLi1ELi32ELi1ELi8EEEELi4ELNS_13LoopSchedulerE0ELNS_15PipelineVersionE0EDF16_DF16_EELb1EEEvNT_8ArgumentE
                                        ; -- End function
	.section	.AMDGPU.csdata,"",@progbits
; Kernel info:
; codeLenInByte = 4
; NumSgprs: 0
; NumVgprs: 0
; ScratchSize: 0
; MemoryBound: 0
; FloatMode: 240
; IeeeMode: 1
; LDSByteSize: 0 bytes/workgroup (compile time only)
; SGPRBlocks: 0
; VGPRBlocks: 0
; NumSGPRsForWavesPerEU: 1
; NumVGPRsForWavesPerEU: 1
; Occupancy: 16
; WaveLimiterHint : 0
; COMPUTE_PGM_RSRC2:SCRATCH_EN: 0
; COMPUTE_PGM_RSRC2:USER_SGPR: 15
; COMPUTE_PGM_RSRC2:TRAP_HANDLER: 0
; COMPUTE_PGM_RSRC2:TGID_X_EN: 1
; COMPUTE_PGM_RSRC2:TGID_Y_EN: 0
; COMPUTE_PGM_RSRC2:TGID_Z_EN: 0
; COMPUTE_PGM_RSRC2:TIDIG_COMP_CNT: 0
	.section	.text._ZN2ck27kernel_gemm_xdl_cshuffle_v1INS_43GridwiseGemm_k0mk1_k0nk1_mn_xdl_cshuffle_v1INS_13tensor_layout4gemm8RowMajorENS3_11ColumnMajorES4_NS_9f8_fnuz_tEDF16_fDF16_DF16_NS_16tensor_operation12element_wise11PassThroughES9_S9_LNS7_6device18GemmSpecializationE0ELNS_25InMemoryDataOperationEnumE0ELi1ELi256ELi256ELi128ELi32ELi8ELi8ELi16ELi16ELi8ELi4ENS_8SequenceIJLi4ELi64ELi1EEEENSD_IJLi1ELi0ELi2EEEESF_Li2ELi8ELi8ELb0ELi1ESE_SF_SF_Li2ELi8ELi8ELb0ELi1ELi1ELi1ENSD_IJLi1ELi32ELi1ELi8EEEELi4ELNS_13LoopSchedulerE0ELNS_15PipelineVersionE0EDF16_DF16_EELb0EEEvNT_8ArgumentE,"axG",@progbits,_ZN2ck27kernel_gemm_xdl_cshuffle_v1INS_43GridwiseGemm_k0mk1_k0nk1_mn_xdl_cshuffle_v1INS_13tensor_layout4gemm8RowMajorENS3_11ColumnMajorES4_NS_9f8_fnuz_tEDF16_fDF16_DF16_NS_16tensor_operation12element_wise11PassThroughES9_S9_LNS7_6device18GemmSpecializationE0ELNS_25InMemoryDataOperationEnumE0ELi1ELi256ELi256ELi128ELi32ELi8ELi8ELi16ELi16ELi8ELi4ENS_8SequenceIJLi4ELi64ELi1EEEENSD_IJLi1ELi0ELi2EEEESF_Li2ELi8ELi8ELb0ELi1ESE_SF_SF_Li2ELi8ELi8ELb0ELi1ELi1ELi1ENSD_IJLi1ELi32ELi1ELi8EEEELi4ELNS_13LoopSchedulerE0ELNS_15PipelineVersionE0EDF16_DF16_EELb0EEEvNT_8ArgumentE,comdat
	.protected	_ZN2ck27kernel_gemm_xdl_cshuffle_v1INS_43GridwiseGemm_k0mk1_k0nk1_mn_xdl_cshuffle_v1INS_13tensor_layout4gemm8RowMajorENS3_11ColumnMajorES4_NS_9f8_fnuz_tEDF16_fDF16_DF16_NS_16tensor_operation12element_wise11PassThroughES9_S9_LNS7_6device18GemmSpecializationE0ELNS_25InMemoryDataOperationEnumE0ELi1ELi256ELi256ELi128ELi32ELi8ELi8ELi16ELi16ELi8ELi4ENS_8SequenceIJLi4ELi64ELi1EEEENSD_IJLi1ELi0ELi2EEEESF_Li2ELi8ELi8ELb0ELi1ESE_SF_SF_Li2ELi8ELi8ELb0ELi1ELi1ELi1ENSD_IJLi1ELi32ELi1ELi8EEEELi4ELNS_13LoopSchedulerE0ELNS_15PipelineVersionE0EDF16_DF16_EELb0EEEvNT_8ArgumentE ; -- Begin function _ZN2ck27kernel_gemm_xdl_cshuffle_v1INS_43GridwiseGemm_k0mk1_k0nk1_mn_xdl_cshuffle_v1INS_13tensor_layout4gemm8RowMajorENS3_11ColumnMajorES4_NS_9f8_fnuz_tEDF16_fDF16_DF16_NS_16tensor_operation12element_wise11PassThroughES9_S9_LNS7_6device18GemmSpecializationE0ELNS_25InMemoryDataOperationEnumE0ELi1ELi256ELi256ELi128ELi32ELi8ELi8ELi16ELi16ELi8ELi4ENS_8SequenceIJLi4ELi64ELi1EEEENSD_IJLi1ELi0ELi2EEEESF_Li2ELi8ELi8ELb0ELi1ESE_SF_SF_Li2ELi8ELi8ELb0ELi1ELi1ELi1ENSD_IJLi1ELi32ELi1ELi8EEEELi4ELNS_13LoopSchedulerE0ELNS_15PipelineVersionE0EDF16_DF16_EELb0EEEvNT_8ArgumentE
	.globl	_ZN2ck27kernel_gemm_xdl_cshuffle_v1INS_43GridwiseGemm_k0mk1_k0nk1_mn_xdl_cshuffle_v1INS_13tensor_layout4gemm8RowMajorENS3_11ColumnMajorES4_NS_9f8_fnuz_tEDF16_fDF16_DF16_NS_16tensor_operation12element_wise11PassThroughES9_S9_LNS7_6device18GemmSpecializationE0ELNS_25InMemoryDataOperationEnumE0ELi1ELi256ELi256ELi128ELi32ELi8ELi8ELi16ELi16ELi8ELi4ENS_8SequenceIJLi4ELi64ELi1EEEENSD_IJLi1ELi0ELi2EEEESF_Li2ELi8ELi8ELb0ELi1ESE_SF_SF_Li2ELi8ELi8ELb0ELi1ELi1ELi1ENSD_IJLi1ELi32ELi1ELi8EEEELi4ELNS_13LoopSchedulerE0ELNS_15PipelineVersionE0EDF16_DF16_EELb0EEEvNT_8ArgumentE
	.p2align	8
	.type	_ZN2ck27kernel_gemm_xdl_cshuffle_v1INS_43GridwiseGemm_k0mk1_k0nk1_mn_xdl_cshuffle_v1INS_13tensor_layout4gemm8RowMajorENS3_11ColumnMajorES4_NS_9f8_fnuz_tEDF16_fDF16_DF16_NS_16tensor_operation12element_wise11PassThroughES9_S9_LNS7_6device18GemmSpecializationE0ELNS_25InMemoryDataOperationEnumE0ELi1ELi256ELi256ELi128ELi32ELi8ELi8ELi16ELi16ELi8ELi4ENS_8SequenceIJLi4ELi64ELi1EEEENSD_IJLi1ELi0ELi2EEEESF_Li2ELi8ELi8ELb0ELi1ESE_SF_SF_Li2ELi8ELi8ELb0ELi1ELi1ELi1ENSD_IJLi1ELi32ELi1ELi8EEEELi4ELNS_13LoopSchedulerE0ELNS_15PipelineVersionE0EDF16_DF16_EELb0EEEvNT_8ArgumentE,@function
_ZN2ck27kernel_gemm_xdl_cshuffle_v1INS_43GridwiseGemm_k0mk1_k0nk1_mn_xdl_cshuffle_v1INS_13tensor_layout4gemm8RowMajorENS3_11ColumnMajorES4_NS_9f8_fnuz_tEDF16_fDF16_DF16_NS_16tensor_operation12element_wise11PassThroughES9_S9_LNS7_6device18GemmSpecializationE0ELNS_25InMemoryDataOperationEnumE0ELi1ELi256ELi256ELi128ELi32ELi8ELi8ELi16ELi16ELi8ELi4ENS_8SequenceIJLi4ELi64ELi1EEEENSD_IJLi1ELi0ELi2EEEESF_Li2ELi8ELi8ELb0ELi1ESE_SF_SF_Li2ELi8ELi8ELb0ELi1ELi1ELi1ENSD_IJLi1ELi32ELi1ELi8EEEELi4ELNS_13LoopSchedulerE0ELNS_15PipelineVersionE0EDF16_DF16_EELb0EEEvNT_8ArgumentE: ; @_ZN2ck27kernel_gemm_xdl_cshuffle_v1INS_43GridwiseGemm_k0mk1_k0nk1_mn_xdl_cshuffle_v1INS_13tensor_layout4gemm8RowMajorENS3_11ColumnMajorES4_NS_9f8_fnuz_tEDF16_fDF16_DF16_NS_16tensor_operation12element_wise11PassThroughES9_S9_LNS7_6device18GemmSpecializationE0ELNS_25InMemoryDataOperationEnumE0ELi1ELi256ELi256ELi128ELi32ELi8ELi8ELi16ELi16ELi8ELi4ENS_8SequenceIJLi4ELi64ELi1EEEENSD_IJLi1ELi0ELi2EEEESF_Li2ELi8ELi8ELb0ELi1ESE_SF_SF_Li2ELi8ELi8ELb0ELi1ELi1ELi1ENSD_IJLi1ELi32ELi1ELi8EEEELi4ELNS_13LoopSchedulerE0ELNS_15PipelineVersionE0EDF16_DF16_EELb0EEEvNT_8ArgumentE
; %bb.0:
	s_endpgm
	.section	.rodata,"a",@progbits
	.p2align	6, 0x0
	.amdhsa_kernel _ZN2ck27kernel_gemm_xdl_cshuffle_v1INS_43GridwiseGemm_k0mk1_k0nk1_mn_xdl_cshuffle_v1INS_13tensor_layout4gemm8RowMajorENS3_11ColumnMajorES4_NS_9f8_fnuz_tEDF16_fDF16_DF16_NS_16tensor_operation12element_wise11PassThroughES9_S9_LNS7_6device18GemmSpecializationE0ELNS_25InMemoryDataOperationEnumE0ELi1ELi256ELi256ELi128ELi32ELi8ELi8ELi16ELi16ELi8ELi4ENS_8SequenceIJLi4ELi64ELi1EEEENSD_IJLi1ELi0ELi2EEEESF_Li2ELi8ELi8ELb0ELi1ESE_SF_SF_Li2ELi8ELi8ELb0ELi1ELi1ELi1ENSD_IJLi1ELi32ELi1ELi8EEEELi4ELNS_13LoopSchedulerE0ELNS_15PipelineVersionE0EDF16_DF16_EELb0EEEvNT_8ArgumentE
		.amdhsa_group_segment_fixed_size 0
		.amdhsa_private_segment_fixed_size 0
		.amdhsa_kernarg_size 96
		.amdhsa_user_sgpr_count 15
		.amdhsa_user_sgpr_dispatch_ptr 0
		.amdhsa_user_sgpr_queue_ptr 0
		.amdhsa_user_sgpr_kernarg_segment_ptr 1
		.amdhsa_user_sgpr_dispatch_id 0
		.amdhsa_user_sgpr_private_segment_size 0
		.amdhsa_wavefront_size32 1
		.amdhsa_uses_dynamic_stack 0
		.amdhsa_enable_private_segment 0
		.amdhsa_system_sgpr_workgroup_id_x 1
		.amdhsa_system_sgpr_workgroup_id_y 0
		.amdhsa_system_sgpr_workgroup_id_z 0
		.amdhsa_system_sgpr_workgroup_info 0
		.amdhsa_system_vgpr_workitem_id 0
		.amdhsa_next_free_vgpr 1
		.amdhsa_next_free_sgpr 1
		.amdhsa_reserve_vcc 0
		.amdhsa_float_round_mode_32 0
		.amdhsa_float_round_mode_16_64 0
		.amdhsa_float_denorm_mode_32 3
		.amdhsa_float_denorm_mode_16_64 3
		.amdhsa_dx10_clamp 1
		.amdhsa_ieee_mode 1
		.amdhsa_fp16_overflow 0
		.amdhsa_workgroup_processor_mode 1
		.amdhsa_memory_ordered 1
		.amdhsa_forward_progress 0
		.amdhsa_shared_vgpr_count 0
		.amdhsa_exception_fp_ieee_invalid_op 0
		.amdhsa_exception_fp_denorm_src 0
		.amdhsa_exception_fp_ieee_div_zero 0
		.amdhsa_exception_fp_ieee_overflow 0
		.amdhsa_exception_fp_ieee_underflow 0
		.amdhsa_exception_fp_ieee_inexact 0
		.amdhsa_exception_int_div_zero 0
	.end_amdhsa_kernel
	.section	.text._ZN2ck27kernel_gemm_xdl_cshuffle_v1INS_43GridwiseGemm_k0mk1_k0nk1_mn_xdl_cshuffle_v1INS_13tensor_layout4gemm8RowMajorENS3_11ColumnMajorES4_NS_9f8_fnuz_tEDF16_fDF16_DF16_NS_16tensor_operation12element_wise11PassThroughES9_S9_LNS7_6device18GemmSpecializationE0ELNS_25InMemoryDataOperationEnumE0ELi1ELi256ELi256ELi128ELi32ELi8ELi8ELi16ELi16ELi8ELi4ENS_8SequenceIJLi4ELi64ELi1EEEENSD_IJLi1ELi0ELi2EEEESF_Li2ELi8ELi8ELb0ELi1ESE_SF_SF_Li2ELi8ELi8ELb0ELi1ELi1ELi1ENSD_IJLi1ELi32ELi1ELi8EEEELi4ELNS_13LoopSchedulerE0ELNS_15PipelineVersionE0EDF16_DF16_EELb0EEEvNT_8ArgumentE,"axG",@progbits,_ZN2ck27kernel_gemm_xdl_cshuffle_v1INS_43GridwiseGemm_k0mk1_k0nk1_mn_xdl_cshuffle_v1INS_13tensor_layout4gemm8RowMajorENS3_11ColumnMajorES4_NS_9f8_fnuz_tEDF16_fDF16_DF16_NS_16tensor_operation12element_wise11PassThroughES9_S9_LNS7_6device18GemmSpecializationE0ELNS_25InMemoryDataOperationEnumE0ELi1ELi256ELi256ELi128ELi32ELi8ELi8ELi16ELi16ELi8ELi4ENS_8SequenceIJLi4ELi64ELi1EEEENSD_IJLi1ELi0ELi2EEEESF_Li2ELi8ELi8ELb0ELi1ESE_SF_SF_Li2ELi8ELi8ELb0ELi1ELi1ELi1ENSD_IJLi1ELi32ELi1ELi8EEEELi4ELNS_13LoopSchedulerE0ELNS_15PipelineVersionE0EDF16_DF16_EELb0EEEvNT_8ArgumentE,comdat
.Lfunc_end2:
	.size	_ZN2ck27kernel_gemm_xdl_cshuffle_v1INS_43GridwiseGemm_k0mk1_k0nk1_mn_xdl_cshuffle_v1INS_13tensor_layout4gemm8RowMajorENS3_11ColumnMajorES4_NS_9f8_fnuz_tEDF16_fDF16_DF16_NS_16tensor_operation12element_wise11PassThroughES9_S9_LNS7_6device18GemmSpecializationE0ELNS_25InMemoryDataOperationEnumE0ELi1ELi256ELi256ELi128ELi32ELi8ELi8ELi16ELi16ELi8ELi4ENS_8SequenceIJLi4ELi64ELi1EEEENSD_IJLi1ELi0ELi2EEEESF_Li2ELi8ELi8ELb0ELi1ESE_SF_SF_Li2ELi8ELi8ELb0ELi1ELi1ELi1ENSD_IJLi1ELi32ELi1ELi8EEEELi4ELNS_13LoopSchedulerE0ELNS_15PipelineVersionE0EDF16_DF16_EELb0EEEvNT_8ArgumentE, .Lfunc_end2-_ZN2ck27kernel_gemm_xdl_cshuffle_v1INS_43GridwiseGemm_k0mk1_k0nk1_mn_xdl_cshuffle_v1INS_13tensor_layout4gemm8RowMajorENS3_11ColumnMajorES4_NS_9f8_fnuz_tEDF16_fDF16_DF16_NS_16tensor_operation12element_wise11PassThroughES9_S9_LNS7_6device18GemmSpecializationE0ELNS_25InMemoryDataOperationEnumE0ELi1ELi256ELi256ELi128ELi32ELi8ELi8ELi16ELi16ELi8ELi4ENS_8SequenceIJLi4ELi64ELi1EEEENSD_IJLi1ELi0ELi2EEEESF_Li2ELi8ELi8ELb0ELi1ESE_SF_SF_Li2ELi8ELi8ELb0ELi1ELi1ELi1ENSD_IJLi1ELi32ELi1ELi8EEEELi4ELNS_13LoopSchedulerE0ELNS_15PipelineVersionE0EDF16_DF16_EELb0EEEvNT_8ArgumentE
                                        ; -- End function
	.section	.AMDGPU.csdata,"",@progbits
; Kernel info:
; codeLenInByte = 4
; NumSgprs: 0
; NumVgprs: 0
; ScratchSize: 0
; MemoryBound: 0
; FloatMode: 240
; IeeeMode: 1
; LDSByteSize: 0 bytes/workgroup (compile time only)
; SGPRBlocks: 0
; VGPRBlocks: 0
; NumSGPRsForWavesPerEU: 1
; NumVGPRsForWavesPerEU: 1
; Occupancy: 16
; WaveLimiterHint : 0
; COMPUTE_PGM_RSRC2:SCRATCH_EN: 0
; COMPUTE_PGM_RSRC2:USER_SGPR: 15
; COMPUTE_PGM_RSRC2:TRAP_HANDLER: 0
; COMPUTE_PGM_RSRC2:TGID_X_EN: 1
; COMPUTE_PGM_RSRC2:TGID_Y_EN: 0
; COMPUTE_PGM_RSRC2:TGID_Z_EN: 0
; COMPUTE_PGM_RSRC2:TIDIG_COMP_CNT: 0
	.section	.text._ZN2ck27kernel_gemm_xdl_cshuffle_v1INS_43GridwiseGemm_k0mk1_k0nk1_mn_xdl_cshuffle_v1INS_13tensor_layout4gemm8RowMajorENS3_11ColumnMajorES4_NS_9f8_fnuz_tEDF16_fDF16_DF16_NS_16tensor_operation12element_wise11PassThroughES9_S9_LNS7_6device18GemmSpecializationE0ELNS_25InMemoryDataOperationEnumE0ELi1ELi256ELi256ELi128ELi32ELi8ELi8ELi16ELi16ELi8ELi2ENS_8SequenceIJLi4ELi64ELi1EEEENSD_IJLi1ELi0ELi2EEEESF_Li2ELi8ELi8ELb0ELi1ESE_SF_SF_Li2ELi8ELi8ELb0ELi1ELi1ELi1ENSD_IJLi1ELi32ELi1ELi8EEEELi4ELNS_13LoopSchedulerE0ELNS_15PipelineVersionE0EDF16_DF16_EELb1EEEvNT_8ArgumentE,"axG",@progbits,_ZN2ck27kernel_gemm_xdl_cshuffle_v1INS_43GridwiseGemm_k0mk1_k0nk1_mn_xdl_cshuffle_v1INS_13tensor_layout4gemm8RowMajorENS3_11ColumnMajorES4_NS_9f8_fnuz_tEDF16_fDF16_DF16_NS_16tensor_operation12element_wise11PassThroughES9_S9_LNS7_6device18GemmSpecializationE0ELNS_25InMemoryDataOperationEnumE0ELi1ELi256ELi256ELi128ELi32ELi8ELi8ELi16ELi16ELi8ELi2ENS_8SequenceIJLi4ELi64ELi1EEEENSD_IJLi1ELi0ELi2EEEESF_Li2ELi8ELi8ELb0ELi1ESE_SF_SF_Li2ELi8ELi8ELb0ELi1ELi1ELi1ENSD_IJLi1ELi32ELi1ELi8EEEELi4ELNS_13LoopSchedulerE0ELNS_15PipelineVersionE0EDF16_DF16_EELb1EEEvNT_8ArgumentE,comdat
	.protected	_ZN2ck27kernel_gemm_xdl_cshuffle_v1INS_43GridwiseGemm_k0mk1_k0nk1_mn_xdl_cshuffle_v1INS_13tensor_layout4gemm8RowMajorENS3_11ColumnMajorES4_NS_9f8_fnuz_tEDF16_fDF16_DF16_NS_16tensor_operation12element_wise11PassThroughES9_S9_LNS7_6device18GemmSpecializationE0ELNS_25InMemoryDataOperationEnumE0ELi1ELi256ELi256ELi128ELi32ELi8ELi8ELi16ELi16ELi8ELi2ENS_8SequenceIJLi4ELi64ELi1EEEENSD_IJLi1ELi0ELi2EEEESF_Li2ELi8ELi8ELb0ELi1ESE_SF_SF_Li2ELi8ELi8ELb0ELi1ELi1ELi1ENSD_IJLi1ELi32ELi1ELi8EEEELi4ELNS_13LoopSchedulerE0ELNS_15PipelineVersionE0EDF16_DF16_EELb1EEEvNT_8ArgumentE ; -- Begin function _ZN2ck27kernel_gemm_xdl_cshuffle_v1INS_43GridwiseGemm_k0mk1_k0nk1_mn_xdl_cshuffle_v1INS_13tensor_layout4gemm8RowMajorENS3_11ColumnMajorES4_NS_9f8_fnuz_tEDF16_fDF16_DF16_NS_16tensor_operation12element_wise11PassThroughES9_S9_LNS7_6device18GemmSpecializationE0ELNS_25InMemoryDataOperationEnumE0ELi1ELi256ELi256ELi128ELi32ELi8ELi8ELi16ELi16ELi8ELi2ENS_8SequenceIJLi4ELi64ELi1EEEENSD_IJLi1ELi0ELi2EEEESF_Li2ELi8ELi8ELb0ELi1ESE_SF_SF_Li2ELi8ELi8ELb0ELi1ELi1ELi1ENSD_IJLi1ELi32ELi1ELi8EEEELi4ELNS_13LoopSchedulerE0ELNS_15PipelineVersionE0EDF16_DF16_EELb1EEEvNT_8ArgumentE
	.globl	_ZN2ck27kernel_gemm_xdl_cshuffle_v1INS_43GridwiseGemm_k0mk1_k0nk1_mn_xdl_cshuffle_v1INS_13tensor_layout4gemm8RowMajorENS3_11ColumnMajorES4_NS_9f8_fnuz_tEDF16_fDF16_DF16_NS_16tensor_operation12element_wise11PassThroughES9_S9_LNS7_6device18GemmSpecializationE0ELNS_25InMemoryDataOperationEnumE0ELi1ELi256ELi256ELi128ELi32ELi8ELi8ELi16ELi16ELi8ELi2ENS_8SequenceIJLi4ELi64ELi1EEEENSD_IJLi1ELi0ELi2EEEESF_Li2ELi8ELi8ELb0ELi1ESE_SF_SF_Li2ELi8ELi8ELb0ELi1ELi1ELi1ENSD_IJLi1ELi32ELi1ELi8EEEELi4ELNS_13LoopSchedulerE0ELNS_15PipelineVersionE0EDF16_DF16_EELb1EEEvNT_8ArgumentE
	.p2align	8
	.type	_ZN2ck27kernel_gemm_xdl_cshuffle_v1INS_43GridwiseGemm_k0mk1_k0nk1_mn_xdl_cshuffle_v1INS_13tensor_layout4gemm8RowMajorENS3_11ColumnMajorES4_NS_9f8_fnuz_tEDF16_fDF16_DF16_NS_16tensor_operation12element_wise11PassThroughES9_S9_LNS7_6device18GemmSpecializationE0ELNS_25InMemoryDataOperationEnumE0ELi1ELi256ELi256ELi128ELi32ELi8ELi8ELi16ELi16ELi8ELi2ENS_8SequenceIJLi4ELi64ELi1EEEENSD_IJLi1ELi0ELi2EEEESF_Li2ELi8ELi8ELb0ELi1ESE_SF_SF_Li2ELi8ELi8ELb0ELi1ELi1ELi1ENSD_IJLi1ELi32ELi1ELi8EEEELi4ELNS_13LoopSchedulerE0ELNS_15PipelineVersionE0EDF16_DF16_EELb1EEEvNT_8ArgumentE,@function
_ZN2ck27kernel_gemm_xdl_cshuffle_v1INS_43GridwiseGemm_k0mk1_k0nk1_mn_xdl_cshuffle_v1INS_13tensor_layout4gemm8RowMajorENS3_11ColumnMajorES4_NS_9f8_fnuz_tEDF16_fDF16_DF16_NS_16tensor_operation12element_wise11PassThroughES9_S9_LNS7_6device18GemmSpecializationE0ELNS_25InMemoryDataOperationEnumE0ELi1ELi256ELi256ELi128ELi32ELi8ELi8ELi16ELi16ELi8ELi2ENS_8SequenceIJLi4ELi64ELi1EEEENSD_IJLi1ELi0ELi2EEEESF_Li2ELi8ELi8ELb0ELi1ESE_SF_SF_Li2ELi8ELi8ELb0ELi1ELi1ELi1ENSD_IJLi1ELi32ELi1ELi8EEEELi4ELNS_13LoopSchedulerE0ELNS_15PipelineVersionE0EDF16_DF16_EELb1EEEvNT_8ArgumentE: ; @_ZN2ck27kernel_gemm_xdl_cshuffle_v1INS_43GridwiseGemm_k0mk1_k0nk1_mn_xdl_cshuffle_v1INS_13tensor_layout4gemm8RowMajorENS3_11ColumnMajorES4_NS_9f8_fnuz_tEDF16_fDF16_DF16_NS_16tensor_operation12element_wise11PassThroughES9_S9_LNS7_6device18GemmSpecializationE0ELNS_25InMemoryDataOperationEnumE0ELi1ELi256ELi256ELi128ELi32ELi8ELi8ELi16ELi16ELi8ELi2ENS_8SequenceIJLi4ELi64ELi1EEEENSD_IJLi1ELi0ELi2EEEESF_Li2ELi8ELi8ELb0ELi1ESE_SF_SF_Li2ELi8ELi8ELb0ELi1ELi1ELi1ENSD_IJLi1ELi32ELi1ELi8EEEELi4ELNS_13LoopSchedulerE0ELNS_15PipelineVersionE0EDF16_DF16_EELb1EEEvNT_8ArgumentE
; %bb.0:
	s_clause 0x1
	s_load_b128 s[4:7], s[0:1], 0x10
	s_load_b64 s[16:17], s[0:1], 0x20
	s_add_u32 s19, 0, 0
	v_and_b32_e32 v5, 0xfc, v0
	v_and_b32_e32 v132, 3, v0
	s_delay_alu instid0(VALU_DEP_1)
	v_lshlrev_b32_e32 v133, 3, v132
	s_waitcnt lgkmcnt(0)
	s_addc_u32 s20, s4, -1
	s_add_i32 s2, s4, 0xff
	s_add_i32 s3, s5, 0x7f
	s_ashr_i32 s4, s2, 31
	s_ashr_i32 s8, s3, 31
	s_lshr_b32 s4, s4, 24
	s_lshr_b32 s8, s8, 25
	s_add_i32 s2, s2, s4
	s_add_i32 s3, s3, s8
	s_ashr_i32 s2, s2, 8
	s_ashr_i32 s3, s3, 7
	s_abs_i32 s10, s15
	s_mul_i32 s4, s3, s2
	s_delay_alu instid0(SALU_CYCLE_1) | instskip(NEXT) | instid1(SALU_CYCLE_1)
	s_abs_i32 s4, s4
	v_cvt_f32_u32_e32 v1, s4
	s_sub_i32 s9, 0, s4
	s_delay_alu instid0(VALU_DEP_1) | instskip(SKIP_2) | instid1(VALU_DEP_1)
	v_rcp_iflag_f32_e32 v1, v1
	s_waitcnt_depctr 0xfff
	v_mul_f32_e32 v1, 0x4f7ffffe, v1
	v_cvt_u32_f32_e32 v1, v1
	s_delay_alu instid0(VALU_DEP_1) | instskip(NEXT) | instid1(VALU_DEP_1)
	v_readfirstlane_b32 s8, v1
	s_mul_i32 s9, s9, s8
	s_delay_alu instid0(SALU_CYCLE_1) | instskip(NEXT) | instid1(SALU_CYCLE_1)
	s_mul_hi_u32 s9, s8, s9
	s_add_i32 s8, s8, s9
	s_ashr_i32 s9, s15, 31
	s_mul_hi_u32 s8, s10, s8
	s_delay_alu instid0(SALU_CYCLE_1) | instskip(NEXT) | instid1(SALU_CYCLE_1)
	s_mul_i32 s8, s8, s4
	s_sub_i32 s8, s10, s8
	s_delay_alu instid0(SALU_CYCLE_1) | instskip(SKIP_2) | instid1(SALU_CYCLE_1)
	s_sub_i32 s10, s8, s4
	s_cmp_ge_u32 s8, s4
	s_cselect_b32 s8, s10, s8
	s_sub_i32 s10, s8, s4
	s_cmp_ge_u32 s8, s4
	s_cselect_b32 s4, s10, s8
	s_abs_i32 s8, s3
	s_xor_b32 s4, s4, s9
	v_cvt_f32_u32_e32 v1, s8
	s_sub_i32 s11, 0, s8
	s_sub_i32 s4, s4, s9
	s_delay_alu instid0(VALU_DEP_1) | instskip(SKIP_2) | instid1(VALU_DEP_1)
	v_rcp_iflag_f32_e32 v1, v1
	s_waitcnt_depctr 0xfff
	v_mul_f32_e32 v1, 0x4f7ffffe, v1
	v_cvt_u32_f32_e32 v1, v1
	s_delay_alu instid0(VALU_DEP_1) | instskip(NEXT) | instid1(VALU_DEP_1)
	v_readfirstlane_b32 s10, v1
	s_mul_i32 s11, s11, s10
	s_delay_alu instid0(SALU_CYCLE_1) | instskip(SKIP_2) | instid1(SALU_CYCLE_1)
	s_mul_hi_u32 s9, s10, s11
	s_abs_i32 s11, s4
	s_add_i32 s10, s10, s9
	s_mul_hi_u32 s9, s11, s10
	s_xor_b32 s10, s4, s3
	s_mul_i32 s12, s9, s8
	s_ashr_i32 s10, s10, 31
	s_sub_i32 s11, s11, s12
	s_add_i32 s12, s9, 1
	s_sub_i32 s13, s11, s8
	s_cmp_ge_u32 s11, s8
	s_cselect_b32 s9, s12, s9
	s_cselect_b32 s11, s13, s11
	s_add_i32 s12, s9, 1
	s_cmp_ge_u32 s11, s8
	s_cselect_b32 s8, s12, s9
	s_lshr_b32 s9, s2, 29
	s_xor_b32 s8, s8, s10
	s_add_i32 s9, s2, s9
	s_sub_i32 s8, s8, s10
	s_and_b32 s9, s9, -8
	s_mul_i32 s11, s8, s3
	s_sub_i32 s2, s2, s9
	s_cmp_ge_i32 s8, s9
	s_cselect_b32 s2, s2, 8
	s_ashr_i32 s10, s8, 31
	s_abs_i32 s9, s2
	s_lshr_b32 s10, s10, 29
	v_cvt_f32_u32_e32 v1, s9
	s_add_i32 s10, s8, s10
	s_sub_i32 s4, s4, s11
	s_and_b32 s10, s10, -8
	s_sub_i32 s11, 0, s9
	v_rcp_iflag_f32_e32 v1, v1
	s_sub_i32 s10, s8, s10
	s_delay_alu instid0(SALU_CYCLE_1) | instskip(NEXT) | instid1(SALU_CYCLE_1)
	s_mul_i32 s3, s10, s3
	s_add_i32 s3, s3, s4
	s_waitcnt_depctr 0xfff
	v_mul_f32_e32 v1, 0x4f7ffffe, v1
	s_delay_alu instid0(VALU_DEP_1) | instskip(NEXT) | instid1(VALU_DEP_1)
	v_cvt_u32_f32_e32 v1, v1
	v_readfirstlane_b32 s12, v1
	s_delay_alu instid0(VALU_DEP_1) | instskip(NEXT) | instid1(SALU_CYCLE_1)
	s_mul_i32 s11, s11, s12
	s_mul_hi_u32 s4, s12, s11
	s_abs_i32 s11, s3
	s_add_i32 s12, s12, s4
	s_delay_alu instid0(SALU_CYCLE_1)
	s_mul_hi_u32 s4, s11, s12
	s_xor_b32 s12, s3, s2
	s_mul_i32 s13, s4, s9
	s_ashr_i32 s12, s12, 31
	s_sub_i32 s11, s11, s13
	s_add_i32 s13, s4, 1
	s_sub_i32 s14, s11, s9
	s_cmp_ge_u32 s11, s9
	s_cselect_b32 s4, s13, s4
	s_cselect_b32 s11, s14, s11
	s_add_i32 s13, s4, 1
	s_cmp_ge_u32 s11, s9
	s_mov_b32 s11, 0x31004000
	s_cselect_b32 s4, s13, s4
	s_delay_alu instid0(SALU_CYCLE_1) | instskip(NEXT) | instid1(SALU_CYCLE_1)
	s_xor_b32 s4, s4, s12
	s_sub_i32 s18, s4, s12
	s_load_b128 s[12:15], s[0:1], 0x48
	s_mul_i32 s2, s18, s2
	s_lshl_b32 s18, s18, 7
	s_sub_i32 s2, s3, s2
	s_delay_alu instid0(SALU_CYCLE_1) | instskip(NEXT) | instid1(SALU_CYCLE_1)
	s_add_i32 s2, s2, s8
	s_sub_i32 s4, s2, s10
	s_delay_alu instid0(SALU_CYCLE_1) | instskip(NEXT) | instid1(SALU_CYCLE_1)
	s_lshl_b32 s2, s4, 8
	v_add_nc_u32_e32 v4, s2, v5
	s_mul_i32 s2, s20, s7
	s_delay_alu instid0(SALU_CYCLE_1) | instskip(NEXT) | instid1(VALU_DEP_1)
	s_add_i32 s10, s6, s2
	v_mul_lo_u32 v3, v4, s7
	s_waitcnt lgkmcnt(0)
	s_mov_b32 s8, s12
	s_mov_b32 s9, s13
	s_delay_alu instid0(VALU_DEP_1)
	v_add_nc_u32_e32 v14, v3, v133
	buffer_load_b64 v[1:2], v14, s[8:11], 0 offen
	s_clause 0x1
	s_load_b32 s2, s[0:1], 0x34
	s_load_b64 s[12:13], s[0:1], 0x58
	s_waitcnt lgkmcnt(0)
	s_ashr_i32 s0, s2, 31
	s_delay_alu instid0(SALU_CYCLE_1) | instskip(SKIP_2) | instid1(SALU_CYCLE_1)
	s_lshr_b32 s1, s0, 30
	s_mov_b32 s0, 0
	s_add_i32 s2, s2, s1
                                        ; implicit-def: $sgpr1
	s_ashr_i32 s21, s2, 2
	s_mov_b32 s2, exec_lo
	s_waitcnt vmcnt(0)
	v_and_b32_e32 v7, 0xff, v1
	s_delay_alu instid0(VALU_DEP_1)
	v_cmpx_lt_i16_e32 0x7f, v7
	s_xor_b32 s2, exec_lo, s2
	s_cbranch_execnz .LBB3_387
; %bb.1:
	s_or_saveexec_b32 s2, s2
	v_mov_b32_e32 v6, s1
	s_xor_b32 exec_lo, exec_lo, s2
	s_cbranch_execnz .LBB3_390
.LBB3_2:
	s_or_b32 exec_lo, exec_lo, s2
	s_and_saveexec_b32 s1, s0
	s_cbranch_execz .LBB3_4
.LBB3_3:
	v_lshrrev_b16 v8, 3, v1
	s_delay_alu instid0(VALU_DEP_1) | instskip(NEXT) | instid1(VALU_DEP_1)
	v_and_b32_e32 v8, 15, v8
	v_and_b32_e32 v10, 0xffff, v8
	v_cmp_eq_u16_e32 vcc_lo, 0, v8
	v_and_b32_e32 v6, 7, v1
	v_lshlrev_b32_e32 v8, 8, v1
	s_delay_alu instid0(VALU_DEP_2) | instskip(NEXT) | instid1(VALU_DEP_2)
	v_clz_i32_u32_e32 v7, v6
	v_and_b32_e32 v8, 0x8000, v8
	s_delay_alu instid0(VALU_DEP_2) | instskip(NEXT) | instid1(VALU_DEP_1)
	v_min_u32_e32 v7, 32, v7
	v_subrev_nc_u32_e32 v9, 28, v7
	v_sub_nc_u32_e32 v7, 29, v7
	s_delay_alu instid0(VALU_DEP_2) | instskip(NEXT) | instid1(VALU_DEP_2)
	v_lshlrev_b32_e32 v9, v9, v1
	v_cndmask_b32_e32 v7, v10, v7, vcc_lo
	s_delay_alu instid0(VALU_DEP_2) | instskip(NEXT) | instid1(VALU_DEP_2)
	v_and_b32_e32 v9, 7, v9
	v_lshl_add_u32 v7, v7, 10, 0x1c00
	s_delay_alu instid0(VALU_DEP_2) | instskip(NEXT) | instid1(VALU_DEP_1)
	v_cndmask_b32_e32 v6, v6, v9, vcc_lo
	v_lshlrev_b32_e32 v6, 7, v6
	s_delay_alu instid0(VALU_DEP_1)
	v_or3_b32 v6, v8, v7, v6
.LBB3_4:
	s_or_b32 exec_lo, exec_lo, s1
	v_lshrrev_b32_e32 v9, 8, v1
	s_mov_b32 s0, 0
	s_mov_b32 s2, exec_lo
                                        ; implicit-def: $sgpr1
	s_delay_alu instid0(VALU_DEP_1) | instskip(NEXT) | instid1(VALU_DEP_1)
	v_and_b32_e32 v8, 0xff, v9
	v_cmpx_lt_i16_e32 0x7f, v8
	s_xor_b32 s2, exec_lo, s2
	s_cbranch_execnz .LBB3_391
; %bb.5:
	s_or_saveexec_b32 s2, s2
	v_mov_b32_e32 v7, s1
	s_xor_b32 exec_lo, exec_lo, s2
	s_cbranch_execnz .LBB3_394
.LBB3_6:
	s_or_b32 exec_lo, exec_lo, s2
	s_and_saveexec_b32 s1, s0
	s_cbranch_execz .LBB3_8
.LBB3_7:
	v_bfe_u32 v7, v1, 8, 3
	v_lshrrev_b16 v10, 3, v9
	s_delay_alu instid0(VALU_DEP_2) | instskip(NEXT) | instid1(VALU_DEP_1)
	v_clz_i32_u32_e32 v8, v7
	v_min_u32_e32 v8, 32, v8
	s_delay_alu instid0(VALU_DEP_1) | instskip(SKIP_1) | instid1(VALU_DEP_2)
	v_subrev_nc_u32_e32 v11, 28, v8
	v_sub_nc_u32_e32 v8, 29, v8
	v_lshlrev_b32_e32 v11, v11, v9
	s_delay_alu instid0(VALU_DEP_1) | instskip(SKIP_1) | instid1(VALU_DEP_1)
	v_and_b32_e32 v11, 7, v11
	v_and_b32_e32 v10, 15, v10
	v_cmp_eq_u16_e32 vcc_lo, 0, v10
	s_delay_alu instid0(VALU_DEP_3) | instskip(SKIP_1) | instid1(VALU_DEP_2)
	v_dual_cndmask_b32 v7, v7, v11 :: v_dual_and_b32 v12, 0xffff, v10
	v_and_b32_e32 v10, 0x8000, v1
	v_dual_cndmask_b32 v8, v12, v8 :: v_dual_lshlrev_b32 v7, 7, v7
	s_delay_alu instid0(VALU_DEP_1) | instskip(NEXT) | instid1(VALU_DEP_1)
	v_lshl_add_u32 v8, v8, 10, 0x1c00
	v_or3_b32 v7, v10, v8, v7
.LBB3_8:
	s_or_b32 exec_lo, exec_lo, s1
	v_lshrrev_b32_e32 v10, 16, v1
	s_mov_b32 s0, 0
	s_mov_b32 s2, exec_lo
                                        ; implicit-def: $sgpr1
	s_delay_alu instid0(VALU_DEP_1) | instskip(NEXT) | instid1(VALU_DEP_1)
	v_and_b32_e32 v11, 0xff, v10
	v_cmpx_lt_i16_e32 0x7f, v11
	s_xor_b32 s2, exec_lo, s2
	s_cbranch_execnz .LBB3_395
; %bb.9:
	s_or_saveexec_b32 s2, s2
	v_mov_b32_e32 v8, s1
	s_xor_b32 exec_lo, exec_lo, s2
	s_cbranch_execnz .LBB3_398
.LBB3_10:
	s_or_b32 exec_lo, exec_lo, s2
	s_and_saveexec_b32 s1, s0
	s_cbranch_execz .LBB3_12
.LBB3_11:
	v_bfe_u32 v8, v1, 16, 3
	v_lshrrev_b32_e32 v13, 19, v1
	v_bfe_u32 v15, v1, 19, 4
	v_and_b32_e32 v9, 0x8000, v9
	s_delay_alu instid0(VALU_DEP_4) | instskip(NEXT) | instid1(VALU_DEP_4)
	v_clz_i32_u32_e32 v11, v8
	v_and_b32_e32 v13, 15, v13
	s_delay_alu instid0(VALU_DEP_2) | instskip(NEXT) | instid1(VALU_DEP_2)
	v_min_u32_e32 v11, 32, v11
	v_cmp_eq_u16_e32 vcc_lo, 0, v13
	s_delay_alu instid0(VALU_DEP_2) | instskip(SKIP_1) | instid1(VALU_DEP_1)
	v_subrev_nc_u32_e32 v12, 28, v11
	v_sub_nc_u32_e32 v11, 29, v11
	v_dual_cndmask_b32 v11, v15, v11 :: v_dual_lshlrev_b32 v12, v12, v10
	s_delay_alu instid0(VALU_DEP_1) | instskip(NEXT) | instid1(VALU_DEP_2)
	v_and_b32_e32 v12, 7, v12
	v_lshl_add_u32 v11, v11, 10, 0x1c00
	s_delay_alu instid0(VALU_DEP_2) | instskip(NEXT) | instid1(VALU_DEP_1)
	v_cndmask_b32_e32 v8, v8, v12, vcc_lo
	v_lshlrev_b32_e32 v8, 7, v8
	s_delay_alu instid0(VALU_DEP_1)
	v_or3_b32 v8, v9, v11, v8
.LBB3_12:
	s_or_b32 exec_lo, exec_lo, s1
	v_lshrrev_b32_e32 v11, 24, v1
	s_mov_b32 s0, 0
	s_mov_b32 s2, exec_lo
                                        ; implicit-def: $sgpr1
	s_delay_alu instid0(VALU_DEP_1)
	v_cmpx_lt_i16_e32 0x7f, v11
	s_xor_b32 s2, exec_lo, s2
	s_cbranch_execnz .LBB3_399
; %bb.13:
	s_or_saveexec_b32 s2, s2
	v_mov_b32_e32 v9, s1
	s_xor_b32 exec_lo, exec_lo, s2
	s_cbranch_execnz .LBB3_402
.LBB3_14:
	s_or_b32 exec_lo, exec_lo, s2
	s_and_saveexec_b32 s1, s0
	s_cbranch_execz .LBB3_16
.LBB3_15:
	v_bfe_u32 v9, v1, 24, 3
	v_lshrrev_b32_e32 v15, 27, v1
	v_bfe_u32 v1, v1, 27, 4
	v_and_b32_e32 v10, 0x8000, v10
	s_delay_alu instid0(VALU_DEP_4) | instskip(NEXT) | instid1(VALU_DEP_1)
	v_clz_i32_u32_e32 v12, v9
	v_min_u32_e32 v12, 32, v12
	s_delay_alu instid0(VALU_DEP_1) | instskip(SKIP_1) | instid1(VALU_DEP_2)
	v_subrev_nc_u32_e32 v13, 28, v12
	v_sub_nc_u32_e32 v12, 29, v12
	v_lshlrev_b32_e32 v11, v13, v11
	v_and_b32_e32 v13, 15, v15
	s_delay_alu instid0(VALU_DEP_2) | instskip(NEXT) | instid1(VALU_DEP_2)
	v_and_b32_e32 v11, 7, v11
	v_cmp_eq_u16_e32 vcc_lo, 0, v13
	s_delay_alu instid0(VALU_DEP_2) | instskip(SKIP_1) | instid1(VALU_DEP_2)
	v_cndmask_b32_e32 v9, v9, v11, vcc_lo
	v_cndmask_b32_e32 v1, v1, v12, vcc_lo
	v_lshlrev_b32_e32 v9, 7, v9
	s_delay_alu instid0(VALU_DEP_2) | instskip(NEXT) | instid1(VALU_DEP_1)
	v_lshl_add_u32 v1, v1, 10, 0x1c00
	v_or3_b32 v9, v10, v1, v9
.LBB3_16:
	s_or_b32 exec_lo, exec_lo, s1
	v_and_b32_e32 v1, 0xff, v2
	s_mov_b32 s0, 0
	s_mov_b32 s2, exec_lo
                                        ; implicit-def: $sgpr1
	s_delay_alu instid0(VALU_DEP_1)
	v_cmpx_lt_i16_e32 0x7f, v1
	s_xor_b32 s2, exec_lo, s2
	s_cbranch_execnz .LBB3_403
; %bb.17:
	s_or_saveexec_b32 s2, s2
	v_mov_b32_e32 v10, s1
	s_xor_b32 exec_lo, exec_lo, s2
	s_cbranch_execnz .LBB3_406
.LBB3_18:
	s_or_b32 exec_lo, exec_lo, s2
	s_and_saveexec_b32 s1, s0
	s_cbranch_execz .LBB3_20
.LBB3_19:
	v_and_b32_e32 v1, 7, v2
	v_lshrrev_b16 v11, 3, v2
	s_delay_alu instid0(VALU_DEP_2) | instskip(NEXT) | instid1(VALU_DEP_1)
	v_clz_i32_u32_e32 v10, v1
	v_min_u32_e32 v10, 32, v10
	s_delay_alu instid0(VALU_DEP_1) | instskip(SKIP_2) | instid1(VALU_DEP_3)
	v_subrev_nc_u32_e32 v12, 28, v10
	v_sub_nc_u32_e32 v10, 29, v10
	v_and_b32_e32 v11, 15, v11
	v_lshlrev_b32_e32 v12, v12, v2
	s_delay_alu instid0(VALU_DEP_2) | instskip(SKIP_2) | instid1(VALU_DEP_4)
	v_and_b32_e32 v13, 0xffff, v11
	v_cmp_eq_u16_e32 vcc_lo, 0, v11
	v_lshlrev_b32_e32 v11, 8, v2
	v_and_b32_e32 v12, 7, v12
	s_delay_alu instid0(VALU_DEP_2) | instskip(NEXT) | instid1(VALU_DEP_2)
	v_dual_cndmask_b32 v10, v13, v10 :: v_dual_and_b32 v11, 0x8000, v11
	v_cndmask_b32_e32 v1, v1, v12, vcc_lo
	s_delay_alu instid0(VALU_DEP_2) | instskip(NEXT) | instid1(VALU_DEP_2)
	v_lshl_add_u32 v10, v10, 10, 0x1c00
	v_lshlrev_b32_e32 v1, 7, v1
	s_delay_alu instid0(VALU_DEP_1)
	v_or3_b32 v10, v11, v10, v1
.LBB3_20:
	s_or_b32 exec_lo, exec_lo, s1
	v_lshrrev_b32_e32 v1, 8, v2
	s_mov_b32 s0, 0
	s_mov_b32 s2, exec_lo
                                        ; implicit-def: $sgpr1
	s_delay_alu instid0(VALU_DEP_1) | instskip(NEXT) | instid1(VALU_DEP_1)
	v_and_b32_e32 v12, 0xff, v1
	v_cmpx_lt_i16_e32 0x7f, v12
	s_xor_b32 s2, exec_lo, s2
	s_cbranch_execnz .LBB3_407
; %bb.21:
	s_or_saveexec_b32 s2, s2
	v_mov_b32_e32 v11, s1
	s_xor_b32 exec_lo, exec_lo, s2
	s_cbranch_execnz .LBB3_410
.LBB3_22:
	s_or_b32 exec_lo, exec_lo, s2
	s_and_saveexec_b32 s1, s0
	s_cbranch_execz .LBB3_24
.LBB3_23:
	v_bfe_u32 v11, v2, 8, 3
	v_lshrrev_b16 v13, 3, v1
	s_delay_alu instid0(VALU_DEP_2) | instskip(NEXT) | instid1(VALU_DEP_1)
	v_clz_i32_u32_e32 v12, v11
	v_min_u32_e32 v12, 32, v12
	s_delay_alu instid0(VALU_DEP_1) | instskip(SKIP_2) | instid1(VALU_DEP_3)
	v_subrev_nc_u32_e32 v15, 28, v12
	v_sub_nc_u32_e32 v12, 29, v12
	v_and_b32_e32 v13, 15, v13
	v_lshlrev_b32_e32 v15, v15, v1
	s_delay_alu instid0(VALU_DEP_2) | instskip(NEXT) | instid1(VALU_DEP_2)
	v_cmp_eq_u16_e32 vcc_lo, 0, v13
	v_and_b32_e32 v15, 7, v15
	v_and_b32_e32 v16, 0xffff, v13
	;; [unrolled: 1-line block ×3, first 2 shown]
	s_delay_alu instid0(VALU_DEP_2) | instskip(NEXT) | instid1(VALU_DEP_1)
	v_dual_cndmask_b32 v11, v11, v15 :: v_dual_cndmask_b32 v12, v16, v12
	v_lshlrev_b32_e32 v11, 7, v11
	s_delay_alu instid0(VALU_DEP_2) | instskip(NEXT) | instid1(VALU_DEP_1)
	v_lshl_add_u32 v12, v12, 10, 0x1c00
	v_or3_b32 v11, v13, v12, v11
.LBB3_24:
	s_or_b32 exec_lo, exec_lo, s1
	v_lshrrev_b32_e32 v15, 16, v2
	s_mov_b32 s0, 0
	s_mov_b32 s2, exec_lo
                                        ; implicit-def: $sgpr1
	s_delay_alu instid0(VALU_DEP_1) | instskip(NEXT) | instid1(VALU_DEP_1)
	v_and_b32_e32 v13, 0xff, v15
	v_cmpx_lt_i16_e32 0x7f, v13
	s_xor_b32 s2, exec_lo, s2
	s_cbranch_execnz .LBB3_411
; %bb.25:
	s_or_saveexec_b32 s2, s2
	v_mov_b32_e32 v12, s1
	s_xor_b32 exec_lo, exec_lo, s2
	s_cbranch_execnz .LBB3_414
.LBB3_26:
	s_or_b32 exec_lo, exec_lo, s2
	s_and_saveexec_b32 s1, s0
	s_cbranch_execz .LBB3_28
.LBB3_27:
	v_bfe_u32 v12, v2, 16, 3
	v_lshrrev_b32_e32 v17, 19, v2
	v_bfe_u32 v18, v2, 19, 4
	v_and_b32_e32 v1, 0x8000, v1
	s_delay_alu instid0(VALU_DEP_4) | instskip(NEXT) | instid1(VALU_DEP_4)
	v_clz_i32_u32_e32 v13, v12
	v_and_b32_e32 v17, 15, v17
	s_delay_alu instid0(VALU_DEP_2) | instskip(NEXT) | instid1(VALU_DEP_2)
	v_min_u32_e32 v13, 32, v13
	v_cmp_eq_u16_e32 vcc_lo, 0, v17
	s_delay_alu instid0(VALU_DEP_2) | instskip(SKIP_1) | instid1(VALU_DEP_1)
	v_subrev_nc_u32_e32 v16, 28, v13
	v_sub_nc_u32_e32 v13, 29, v13
	v_dual_cndmask_b32 v13, v18, v13 :: v_dual_lshlrev_b32 v16, v16, v15
	s_delay_alu instid0(VALU_DEP_1) | instskip(NEXT) | instid1(VALU_DEP_2)
	v_and_b32_e32 v16, 7, v16
	v_lshl_add_u32 v13, v13, 10, 0x1c00
	s_delay_alu instid0(VALU_DEP_2) | instskip(NEXT) | instid1(VALU_DEP_1)
	v_cndmask_b32_e32 v12, v12, v16, vcc_lo
	v_lshlrev_b32_e32 v12, 7, v12
	s_delay_alu instid0(VALU_DEP_1)
	v_or3_b32 v12, v1, v13, v12
.LBB3_28:
	s_or_b32 exec_lo, exec_lo, s1
	v_lshrrev_b32_e32 v1, 24, v2
	s_mov_b32 s0, 0
	s_mov_b32 s2, exec_lo
                                        ; implicit-def: $sgpr1
	s_delay_alu instid0(VALU_DEP_1)
	v_cmpx_lt_i16_e32 0x7f, v1
	s_xor_b32 s2, exec_lo, s2
	s_cbranch_execnz .LBB3_415
; %bb.29:
	s_or_saveexec_b32 s2, s2
	v_mov_b32_e32 v13, s1
	s_xor_b32 exec_lo, exec_lo, s2
	s_cbranch_execnz .LBB3_418
.LBB3_30:
	s_or_b32 exec_lo, exec_lo, s2
	s_and_saveexec_b32 s1, s0
	s_cbranch_execz .LBB3_32
.LBB3_31:
	v_bfe_u32 v13, v2, 24, 3
	v_lshrrev_b32_e32 v18, 27, v2
	v_bfe_u32 v2, v2, 27, 4
	s_delay_alu instid0(VALU_DEP_3) | instskip(NEXT) | instid1(VALU_DEP_1)
	v_clz_i32_u32_e32 v16, v13
	v_min_u32_e32 v16, 32, v16
	s_delay_alu instid0(VALU_DEP_1) | instskip(SKIP_1) | instid1(VALU_DEP_2)
	v_subrev_nc_u32_e32 v17, 28, v16
	v_sub_nc_u32_e32 v16, 29, v16
	v_lshlrev_b32_e32 v1, v17, v1
	v_and_b32_e32 v17, 15, v18
	s_delay_alu instid0(VALU_DEP_1) | instskip(NEXT) | instid1(VALU_DEP_3)
	v_cmp_eq_u16_e32 vcc_lo, 0, v17
	v_dual_cndmask_b32 v2, v2, v16 :: v_dual_and_b32 v1, 7, v1
	s_delay_alu instid0(VALU_DEP_1) | instskip(NEXT) | instid1(VALU_DEP_2)
	v_lshl_add_u32 v2, v2, 10, 0x1c00
	v_cndmask_b32_e32 v1, v13, v1, vcc_lo
	v_and_b32_e32 v13, 0x8000, v15
	s_delay_alu instid0(VALU_DEP_2) | instskip(NEXT) | instid1(VALU_DEP_1)
	v_lshlrev_b32_e32 v1, 7, v1
	v_or3_b32 v13, v13, v2, v1
.LBB3_32:
	s_or_b32 exec_lo, exec_lo, s1
	v_add_nc_u32_e32 v22, s7, v14
	s_mov_b32 s0, 0
	s_mov_b32 s2, exec_lo
                                        ; implicit-def: $sgpr1
	buffer_load_b64 v[1:2], v22, s[8:11], 0 offen
	s_waitcnt vmcnt(0)
	v_and_b32_e32 v15, 0xff, v1
	s_delay_alu instid0(VALU_DEP_1)
	v_cmpx_lt_i16_e32 0x7f, v15
	s_xor_b32 s2, exec_lo, s2
	s_cbranch_execnz .LBB3_419
; %bb.33:
	s_or_saveexec_b32 s2, s2
	v_mov_b32_e32 v14, s1
	s_xor_b32 exec_lo, exec_lo, s2
	s_cbranch_execnz .LBB3_422
.LBB3_34:
	s_or_b32 exec_lo, exec_lo, s2
	s_and_saveexec_b32 s1, s0
	s_cbranch_execz .LBB3_36
.LBB3_35:
	v_lshrrev_b16 v16, 3, v1
	s_delay_alu instid0(VALU_DEP_1) | instskip(NEXT) | instid1(VALU_DEP_1)
	v_and_b32_e32 v16, 15, v16
	v_and_b32_e32 v18, 0xffff, v16
	v_cmp_eq_u16_e32 vcc_lo, 0, v16
	v_and_b32_e32 v14, 7, v1
	v_lshlrev_b32_e32 v16, 8, v1
	s_delay_alu instid0(VALU_DEP_2) | instskip(NEXT) | instid1(VALU_DEP_2)
	v_clz_i32_u32_e32 v15, v14
	v_and_b32_e32 v16, 0x8000, v16
	s_delay_alu instid0(VALU_DEP_2) | instskip(NEXT) | instid1(VALU_DEP_1)
	v_min_u32_e32 v15, 32, v15
	v_subrev_nc_u32_e32 v17, 28, v15
	v_sub_nc_u32_e32 v15, 29, v15
	s_delay_alu instid0(VALU_DEP_2) | instskip(NEXT) | instid1(VALU_DEP_2)
	v_lshlrev_b32_e32 v17, v17, v1
	v_cndmask_b32_e32 v15, v18, v15, vcc_lo
	s_delay_alu instid0(VALU_DEP_2) | instskip(NEXT) | instid1(VALU_DEP_2)
	v_and_b32_e32 v17, 7, v17
	v_lshl_add_u32 v15, v15, 10, 0x1c00
	s_delay_alu instid0(VALU_DEP_2) | instskip(NEXT) | instid1(VALU_DEP_1)
	v_cndmask_b32_e32 v14, v14, v17, vcc_lo
	v_lshlrev_b32_e32 v14, 7, v14
	s_delay_alu instid0(VALU_DEP_1)
	v_or3_b32 v14, v16, v15, v14
.LBB3_36:
	s_or_b32 exec_lo, exec_lo, s1
	v_lshrrev_b32_e32 v17, 8, v1
	s_mov_b32 s0, 0
	s_mov_b32 s2, exec_lo
                                        ; implicit-def: $sgpr1
	s_delay_alu instid0(VALU_DEP_1) | instskip(NEXT) | instid1(VALU_DEP_1)
	v_and_b32_e32 v16, 0xff, v17
	v_cmpx_lt_i16_e32 0x7f, v16
	s_xor_b32 s2, exec_lo, s2
	s_cbranch_execnz .LBB3_423
; %bb.37:
	s_or_saveexec_b32 s2, s2
	v_mov_b32_e32 v15, s1
	s_xor_b32 exec_lo, exec_lo, s2
	s_cbranch_execnz .LBB3_426
.LBB3_38:
	s_or_b32 exec_lo, exec_lo, s2
	s_and_saveexec_b32 s1, s0
	s_cbranch_execz .LBB3_40
.LBB3_39:
	v_bfe_u32 v15, v1, 8, 3
	v_lshrrev_b16 v18, 3, v17
	s_delay_alu instid0(VALU_DEP_2) | instskip(NEXT) | instid1(VALU_DEP_1)
	v_clz_i32_u32_e32 v16, v15
	v_min_u32_e32 v16, 32, v16
	s_delay_alu instid0(VALU_DEP_1) | instskip(SKIP_1) | instid1(VALU_DEP_2)
	v_subrev_nc_u32_e32 v19, 28, v16
	v_sub_nc_u32_e32 v16, 29, v16
	v_lshlrev_b32_e32 v19, v19, v17
	s_delay_alu instid0(VALU_DEP_1) | instskip(SKIP_1) | instid1(VALU_DEP_1)
	v_and_b32_e32 v19, 7, v19
	v_and_b32_e32 v18, 15, v18
	v_cmp_eq_u16_e32 vcc_lo, 0, v18
	s_delay_alu instid0(VALU_DEP_3) | instskip(SKIP_1) | instid1(VALU_DEP_2)
	v_dual_cndmask_b32 v15, v15, v19 :: v_dual_and_b32 v20, 0xffff, v18
	v_and_b32_e32 v18, 0x8000, v1
	v_dual_cndmask_b32 v16, v20, v16 :: v_dual_lshlrev_b32 v15, 7, v15
	s_delay_alu instid0(VALU_DEP_1) | instskip(NEXT) | instid1(VALU_DEP_1)
	v_lshl_add_u32 v16, v16, 10, 0x1c00
	v_or3_b32 v15, v18, v16, v15
.LBB3_40:
	s_or_b32 exec_lo, exec_lo, s1
	v_lshrrev_b32_e32 v18, 16, v1
	s_mov_b32 s0, 0
	s_mov_b32 s2, exec_lo
                                        ; implicit-def: $sgpr1
	s_delay_alu instid0(VALU_DEP_1) | instskip(NEXT) | instid1(VALU_DEP_1)
	v_and_b32_e32 v19, 0xff, v18
	v_cmpx_lt_i16_e32 0x7f, v19
	s_xor_b32 s2, exec_lo, s2
	s_cbranch_execnz .LBB3_427
; %bb.41:
	s_or_saveexec_b32 s2, s2
	v_mov_b32_e32 v16, s1
	s_xor_b32 exec_lo, exec_lo, s2
	s_cbranch_execnz .LBB3_430
.LBB3_42:
	s_or_b32 exec_lo, exec_lo, s2
	s_and_saveexec_b32 s1, s0
	s_cbranch_execz .LBB3_44
.LBB3_43:
	v_bfe_u32 v16, v1, 16, 3
	v_lshrrev_b32_e32 v21, 19, v1
	v_bfe_u32 v23, v1, 19, 4
	v_and_b32_e32 v17, 0x8000, v17
	s_delay_alu instid0(VALU_DEP_4) | instskip(NEXT) | instid1(VALU_DEP_4)
	v_clz_i32_u32_e32 v19, v16
	v_and_b32_e32 v21, 15, v21
	s_delay_alu instid0(VALU_DEP_2) | instskip(NEXT) | instid1(VALU_DEP_2)
	v_min_u32_e32 v19, 32, v19
	v_cmp_eq_u16_e32 vcc_lo, 0, v21
	s_delay_alu instid0(VALU_DEP_2) | instskip(SKIP_1) | instid1(VALU_DEP_1)
	v_subrev_nc_u32_e32 v20, 28, v19
	v_sub_nc_u32_e32 v19, 29, v19
	v_dual_cndmask_b32 v19, v23, v19 :: v_dual_lshlrev_b32 v20, v20, v18
	s_delay_alu instid0(VALU_DEP_1) | instskip(NEXT) | instid1(VALU_DEP_2)
	v_and_b32_e32 v20, 7, v20
	v_lshl_add_u32 v19, v19, 10, 0x1c00
	s_delay_alu instid0(VALU_DEP_2) | instskip(NEXT) | instid1(VALU_DEP_1)
	v_cndmask_b32_e32 v16, v16, v20, vcc_lo
	v_lshlrev_b32_e32 v16, 7, v16
	s_delay_alu instid0(VALU_DEP_1)
	v_or3_b32 v16, v17, v19, v16
.LBB3_44:
	s_or_b32 exec_lo, exec_lo, s1
	v_lshrrev_b32_e32 v19, 24, v1
	s_mov_b32 s0, 0
	s_mov_b32 s2, exec_lo
                                        ; implicit-def: $sgpr1
	s_delay_alu instid0(VALU_DEP_1)
	v_cmpx_lt_i16_e32 0x7f, v19
	s_xor_b32 s2, exec_lo, s2
	s_cbranch_execnz .LBB3_431
; %bb.45:
	s_or_saveexec_b32 s2, s2
	v_mov_b32_e32 v17, s1
	s_xor_b32 exec_lo, exec_lo, s2
	s_cbranch_execnz .LBB3_434
.LBB3_46:
	s_or_b32 exec_lo, exec_lo, s2
	s_and_saveexec_b32 s1, s0
	s_cbranch_execz .LBB3_48
.LBB3_47:
	v_bfe_u32 v17, v1, 24, 3
	v_lshrrev_b32_e32 v23, 27, v1
	v_bfe_u32 v1, v1, 27, 4
	v_and_b32_e32 v18, 0x8000, v18
	s_delay_alu instid0(VALU_DEP_4) | instskip(NEXT) | instid1(VALU_DEP_1)
	v_clz_i32_u32_e32 v20, v17
	v_min_u32_e32 v20, 32, v20
	s_delay_alu instid0(VALU_DEP_1) | instskip(SKIP_1) | instid1(VALU_DEP_2)
	v_subrev_nc_u32_e32 v21, 28, v20
	v_sub_nc_u32_e32 v20, 29, v20
	v_lshlrev_b32_e32 v19, v21, v19
	v_and_b32_e32 v21, 15, v23
	s_delay_alu instid0(VALU_DEP_2) | instskip(NEXT) | instid1(VALU_DEP_2)
	v_and_b32_e32 v19, 7, v19
	v_cmp_eq_u16_e32 vcc_lo, 0, v21
	s_delay_alu instid0(VALU_DEP_2) | instskip(SKIP_1) | instid1(VALU_DEP_2)
	v_cndmask_b32_e32 v17, v17, v19, vcc_lo
	v_cndmask_b32_e32 v1, v1, v20, vcc_lo
	v_lshlrev_b32_e32 v17, 7, v17
	s_delay_alu instid0(VALU_DEP_2) | instskip(NEXT) | instid1(VALU_DEP_1)
	v_lshl_add_u32 v1, v1, 10, 0x1c00
	v_or3_b32 v17, v18, v1, v17
.LBB3_48:
	s_or_b32 exec_lo, exec_lo, s1
	v_and_b32_e32 v1, 0xff, v2
	s_mov_b32 s0, 0
	s_mov_b32 s2, exec_lo
                                        ; implicit-def: $sgpr1
	s_delay_alu instid0(VALU_DEP_1)
	v_cmpx_lt_i16_e32 0x7f, v1
	s_xor_b32 s2, exec_lo, s2
	s_cbranch_execnz .LBB3_435
; %bb.49:
	s_or_saveexec_b32 s2, s2
	v_mov_b32_e32 v18, s1
	s_xor_b32 exec_lo, exec_lo, s2
	s_cbranch_execnz .LBB3_438
.LBB3_50:
	s_or_b32 exec_lo, exec_lo, s2
	s_and_saveexec_b32 s1, s0
	s_cbranch_execz .LBB3_52
.LBB3_51:
	v_and_b32_e32 v1, 7, v2
	v_lshrrev_b16 v19, 3, v2
	s_delay_alu instid0(VALU_DEP_2) | instskip(NEXT) | instid1(VALU_DEP_1)
	v_clz_i32_u32_e32 v18, v1
	v_min_u32_e32 v18, 32, v18
	s_delay_alu instid0(VALU_DEP_1) | instskip(SKIP_2) | instid1(VALU_DEP_3)
	v_subrev_nc_u32_e32 v20, 28, v18
	v_sub_nc_u32_e32 v18, 29, v18
	v_and_b32_e32 v19, 15, v19
	v_lshlrev_b32_e32 v20, v20, v2
	s_delay_alu instid0(VALU_DEP_2) | instskip(SKIP_2) | instid1(VALU_DEP_4)
	v_and_b32_e32 v21, 0xffff, v19
	v_cmp_eq_u16_e32 vcc_lo, 0, v19
	v_lshlrev_b32_e32 v19, 8, v2
	v_and_b32_e32 v20, 7, v20
	s_delay_alu instid0(VALU_DEP_2) | instskip(NEXT) | instid1(VALU_DEP_2)
	v_dual_cndmask_b32 v18, v21, v18 :: v_dual_and_b32 v19, 0x8000, v19
	v_cndmask_b32_e32 v1, v1, v20, vcc_lo
	s_delay_alu instid0(VALU_DEP_2) | instskip(NEXT) | instid1(VALU_DEP_2)
	v_lshl_add_u32 v18, v18, 10, 0x1c00
	v_lshlrev_b32_e32 v1, 7, v1
	s_delay_alu instid0(VALU_DEP_1)
	v_or3_b32 v18, v19, v18, v1
.LBB3_52:
	s_or_b32 exec_lo, exec_lo, s1
	v_lshrrev_b32_e32 v1, 8, v2
	s_mov_b32 s0, 0
	s_mov_b32 s2, exec_lo
                                        ; implicit-def: $sgpr1
	s_delay_alu instid0(VALU_DEP_1) | instskip(NEXT) | instid1(VALU_DEP_1)
	v_and_b32_e32 v20, 0xff, v1
	v_cmpx_lt_i16_e32 0x7f, v20
	s_xor_b32 s2, exec_lo, s2
	s_cbranch_execnz .LBB3_439
; %bb.53:
	s_or_saveexec_b32 s2, s2
	v_mov_b32_e32 v19, s1
	s_xor_b32 exec_lo, exec_lo, s2
	s_cbranch_execnz .LBB3_442
.LBB3_54:
	s_or_b32 exec_lo, exec_lo, s2
	s_and_saveexec_b32 s1, s0
	s_cbranch_execz .LBB3_56
.LBB3_55:
	v_bfe_u32 v19, v2, 8, 3
	v_lshrrev_b16 v21, 3, v1
	s_delay_alu instid0(VALU_DEP_2) | instskip(NEXT) | instid1(VALU_DEP_1)
	v_clz_i32_u32_e32 v20, v19
	v_min_u32_e32 v20, 32, v20
	s_delay_alu instid0(VALU_DEP_1) | instskip(SKIP_2) | instid1(VALU_DEP_3)
	v_subrev_nc_u32_e32 v23, 28, v20
	v_sub_nc_u32_e32 v20, 29, v20
	v_and_b32_e32 v21, 15, v21
	v_lshlrev_b32_e32 v23, v23, v1
	s_delay_alu instid0(VALU_DEP_2) | instskip(NEXT) | instid1(VALU_DEP_2)
	v_cmp_eq_u16_e32 vcc_lo, 0, v21
	v_and_b32_e32 v23, 7, v23
	v_and_b32_e32 v24, 0xffff, v21
	;; [unrolled: 1-line block ×3, first 2 shown]
	s_delay_alu instid0(VALU_DEP_2) | instskip(NEXT) | instid1(VALU_DEP_1)
	v_dual_cndmask_b32 v19, v19, v23 :: v_dual_cndmask_b32 v20, v24, v20
	v_lshlrev_b32_e32 v19, 7, v19
	s_delay_alu instid0(VALU_DEP_2) | instskip(NEXT) | instid1(VALU_DEP_1)
	v_lshl_add_u32 v20, v20, 10, 0x1c00
	v_or3_b32 v19, v21, v20, v19
.LBB3_56:
	s_or_b32 exec_lo, exec_lo, s1
	v_lshrrev_b32_e32 v23, 16, v2
	s_mov_b32 s0, 0
	s_mov_b32 s2, exec_lo
                                        ; implicit-def: $sgpr1
	s_delay_alu instid0(VALU_DEP_1) | instskip(NEXT) | instid1(VALU_DEP_1)
	v_and_b32_e32 v21, 0xff, v23
	v_cmpx_lt_i16_e32 0x7f, v21
	s_xor_b32 s2, exec_lo, s2
	s_cbranch_execnz .LBB3_443
; %bb.57:
	s_or_saveexec_b32 s2, s2
	v_mov_b32_e32 v20, s1
	s_xor_b32 exec_lo, exec_lo, s2
	s_cbranch_execnz .LBB3_446
.LBB3_58:
	s_or_b32 exec_lo, exec_lo, s2
	s_and_saveexec_b32 s1, s0
	s_cbranch_execz .LBB3_60
.LBB3_59:
	v_bfe_u32 v20, v2, 16, 3
	v_lshrrev_b32_e32 v25, 19, v2
	v_bfe_u32 v26, v2, 19, 4
	v_and_b32_e32 v1, 0x8000, v1
	s_delay_alu instid0(VALU_DEP_4) | instskip(NEXT) | instid1(VALU_DEP_4)
	v_clz_i32_u32_e32 v21, v20
	v_and_b32_e32 v25, 15, v25
	s_delay_alu instid0(VALU_DEP_2) | instskip(NEXT) | instid1(VALU_DEP_2)
	v_min_u32_e32 v21, 32, v21
	v_cmp_eq_u16_e32 vcc_lo, 0, v25
	s_delay_alu instid0(VALU_DEP_2) | instskip(SKIP_1) | instid1(VALU_DEP_1)
	v_subrev_nc_u32_e32 v24, 28, v21
	v_sub_nc_u32_e32 v21, 29, v21
	v_dual_cndmask_b32 v21, v26, v21 :: v_dual_lshlrev_b32 v24, v24, v23
	s_delay_alu instid0(VALU_DEP_1) | instskip(NEXT) | instid1(VALU_DEP_2)
	v_and_b32_e32 v24, 7, v24
	v_lshl_add_u32 v21, v21, 10, 0x1c00
	s_delay_alu instid0(VALU_DEP_2) | instskip(NEXT) | instid1(VALU_DEP_1)
	v_cndmask_b32_e32 v20, v20, v24, vcc_lo
	v_lshlrev_b32_e32 v20, 7, v20
	s_delay_alu instid0(VALU_DEP_1)
	v_or3_b32 v20, v1, v21, v20
.LBB3_60:
	s_or_b32 exec_lo, exec_lo, s1
	v_lshrrev_b32_e32 v1, 24, v2
	s_mov_b32 s0, 0
	s_mov_b32 s2, exec_lo
                                        ; implicit-def: $sgpr1
	s_delay_alu instid0(VALU_DEP_1)
	v_cmpx_lt_i16_e32 0x7f, v1
	s_xor_b32 s2, exec_lo, s2
	s_cbranch_execnz .LBB3_447
; %bb.61:
	s_or_saveexec_b32 s2, s2
	v_mov_b32_e32 v21, s1
	s_xor_b32 exec_lo, exec_lo, s2
	s_cbranch_execnz .LBB3_450
.LBB3_62:
	s_or_b32 exec_lo, exec_lo, s2
	s_and_saveexec_b32 s1, s0
	s_cbranch_execz .LBB3_64
.LBB3_63:
	v_bfe_u32 v21, v2, 24, 3
	v_lshrrev_b32_e32 v26, 27, v2
	v_bfe_u32 v2, v2, 27, 4
	s_delay_alu instid0(VALU_DEP_3) | instskip(NEXT) | instid1(VALU_DEP_1)
	v_clz_i32_u32_e32 v24, v21
	v_min_u32_e32 v24, 32, v24
	s_delay_alu instid0(VALU_DEP_1) | instskip(SKIP_1) | instid1(VALU_DEP_2)
	v_subrev_nc_u32_e32 v25, 28, v24
	v_sub_nc_u32_e32 v24, 29, v24
	v_lshlrev_b32_e32 v1, v25, v1
	v_and_b32_e32 v25, 15, v26
	s_delay_alu instid0(VALU_DEP_1) | instskip(NEXT) | instid1(VALU_DEP_3)
	v_cmp_eq_u16_e32 vcc_lo, 0, v25
	v_dual_cndmask_b32 v2, v2, v24 :: v_dual_and_b32 v1, 7, v1
	s_delay_alu instid0(VALU_DEP_1) | instskip(NEXT) | instid1(VALU_DEP_2)
	v_lshl_add_u32 v2, v2, 10, 0x1c00
	v_cndmask_b32_e32 v1, v21, v1, vcc_lo
	v_and_b32_e32 v21, 0x8000, v23
	s_delay_alu instid0(VALU_DEP_2) | instskip(NEXT) | instid1(VALU_DEP_1)
	v_lshlrev_b32_e32 v1, 7, v1
	v_or3_b32 v21, v21, v2, v1
.LBB3_64:
	s_or_b32 exec_lo, exec_lo, s1
	v_add_nc_u32_e32 v30, s7, v22
	s_mov_b32 s0, 0
	s_mov_b32 s2, exec_lo
                                        ; implicit-def: $sgpr1
	buffer_load_b64 v[1:2], v30, s[8:11], 0 offen
	s_waitcnt vmcnt(0)
	v_and_b32_e32 v23, 0xff, v1
	s_delay_alu instid0(VALU_DEP_1)
	v_cmpx_lt_i16_e32 0x7f, v23
	s_xor_b32 s2, exec_lo, s2
	s_cbranch_execnz .LBB3_451
; %bb.65:
	s_or_saveexec_b32 s2, s2
	v_mov_b32_e32 v22, s1
	s_xor_b32 exec_lo, exec_lo, s2
	s_cbranch_execnz .LBB3_454
.LBB3_66:
	s_or_b32 exec_lo, exec_lo, s2
	s_and_saveexec_b32 s1, s0
	s_cbranch_execz .LBB3_68
.LBB3_67:
	v_lshrrev_b16 v24, 3, v1
	s_delay_alu instid0(VALU_DEP_1) | instskip(NEXT) | instid1(VALU_DEP_1)
	v_and_b32_e32 v24, 15, v24
	v_and_b32_e32 v26, 0xffff, v24
	v_cmp_eq_u16_e32 vcc_lo, 0, v24
	v_and_b32_e32 v22, 7, v1
	v_lshlrev_b32_e32 v24, 8, v1
	s_delay_alu instid0(VALU_DEP_2) | instskip(NEXT) | instid1(VALU_DEP_2)
	v_clz_i32_u32_e32 v23, v22
	v_and_b32_e32 v24, 0x8000, v24
	s_delay_alu instid0(VALU_DEP_2) | instskip(NEXT) | instid1(VALU_DEP_1)
	v_min_u32_e32 v23, 32, v23
	v_subrev_nc_u32_e32 v25, 28, v23
	v_sub_nc_u32_e32 v23, 29, v23
	s_delay_alu instid0(VALU_DEP_2) | instskip(NEXT) | instid1(VALU_DEP_2)
	v_lshlrev_b32_e32 v25, v25, v1
	v_cndmask_b32_e32 v23, v26, v23, vcc_lo
	s_delay_alu instid0(VALU_DEP_2) | instskip(NEXT) | instid1(VALU_DEP_2)
	v_and_b32_e32 v25, 7, v25
	v_lshl_add_u32 v23, v23, 10, 0x1c00
	s_delay_alu instid0(VALU_DEP_2) | instskip(NEXT) | instid1(VALU_DEP_1)
	v_cndmask_b32_e32 v22, v22, v25, vcc_lo
	v_lshlrev_b32_e32 v22, 7, v22
	s_delay_alu instid0(VALU_DEP_1)
	v_or3_b32 v22, v24, v23, v22
.LBB3_68:
	s_or_b32 exec_lo, exec_lo, s1
	v_lshrrev_b32_e32 v25, 8, v1
	s_mov_b32 s0, 0
	s_mov_b32 s2, exec_lo
                                        ; implicit-def: $sgpr1
	s_delay_alu instid0(VALU_DEP_1) | instskip(NEXT) | instid1(VALU_DEP_1)
	v_and_b32_e32 v24, 0xff, v25
	v_cmpx_lt_i16_e32 0x7f, v24
	s_xor_b32 s2, exec_lo, s2
	s_cbranch_execnz .LBB3_455
; %bb.69:
	s_or_saveexec_b32 s2, s2
	v_mov_b32_e32 v23, s1
	s_xor_b32 exec_lo, exec_lo, s2
	s_cbranch_execnz .LBB3_458
.LBB3_70:
	s_or_b32 exec_lo, exec_lo, s2
	s_and_saveexec_b32 s1, s0
	s_cbranch_execz .LBB3_72
.LBB3_71:
	v_bfe_u32 v23, v1, 8, 3
	v_lshrrev_b16 v26, 3, v25
	s_delay_alu instid0(VALU_DEP_2) | instskip(NEXT) | instid1(VALU_DEP_1)
	v_clz_i32_u32_e32 v24, v23
	v_min_u32_e32 v24, 32, v24
	s_delay_alu instid0(VALU_DEP_1) | instskip(SKIP_1) | instid1(VALU_DEP_2)
	v_subrev_nc_u32_e32 v27, 28, v24
	v_sub_nc_u32_e32 v24, 29, v24
	v_lshlrev_b32_e32 v27, v27, v25
	s_delay_alu instid0(VALU_DEP_1) | instskip(SKIP_1) | instid1(VALU_DEP_1)
	v_and_b32_e32 v27, 7, v27
	v_and_b32_e32 v26, 15, v26
	v_cmp_eq_u16_e32 vcc_lo, 0, v26
	s_delay_alu instid0(VALU_DEP_3) | instskip(SKIP_1) | instid1(VALU_DEP_2)
	v_dual_cndmask_b32 v23, v23, v27 :: v_dual_and_b32 v28, 0xffff, v26
	v_and_b32_e32 v26, 0x8000, v1
	v_dual_cndmask_b32 v24, v28, v24 :: v_dual_lshlrev_b32 v23, 7, v23
	s_delay_alu instid0(VALU_DEP_1) | instskip(NEXT) | instid1(VALU_DEP_1)
	v_lshl_add_u32 v24, v24, 10, 0x1c00
	v_or3_b32 v23, v26, v24, v23
.LBB3_72:
	s_or_b32 exec_lo, exec_lo, s1
	v_lshrrev_b32_e32 v26, 16, v1
	s_mov_b32 s0, 0
	s_mov_b32 s2, exec_lo
                                        ; implicit-def: $sgpr1
	s_delay_alu instid0(VALU_DEP_1) | instskip(NEXT) | instid1(VALU_DEP_1)
	v_and_b32_e32 v27, 0xff, v26
	v_cmpx_lt_i16_e32 0x7f, v27
	s_xor_b32 s2, exec_lo, s2
	s_cbranch_execnz .LBB3_459
; %bb.73:
	s_or_saveexec_b32 s2, s2
	v_mov_b32_e32 v24, s1
	s_xor_b32 exec_lo, exec_lo, s2
	s_cbranch_execnz .LBB3_462
.LBB3_74:
	s_or_b32 exec_lo, exec_lo, s2
	s_and_saveexec_b32 s1, s0
	s_cbranch_execz .LBB3_76
.LBB3_75:
	v_bfe_u32 v24, v1, 16, 3
	v_lshrrev_b32_e32 v29, 19, v1
	v_bfe_u32 v31, v1, 19, 4
	v_and_b32_e32 v25, 0x8000, v25
	s_delay_alu instid0(VALU_DEP_4) | instskip(NEXT) | instid1(VALU_DEP_4)
	v_clz_i32_u32_e32 v27, v24
	v_and_b32_e32 v29, 15, v29
	s_delay_alu instid0(VALU_DEP_2) | instskip(NEXT) | instid1(VALU_DEP_2)
	v_min_u32_e32 v27, 32, v27
	v_cmp_eq_u16_e32 vcc_lo, 0, v29
	s_delay_alu instid0(VALU_DEP_2) | instskip(SKIP_1) | instid1(VALU_DEP_1)
	v_subrev_nc_u32_e32 v28, 28, v27
	v_sub_nc_u32_e32 v27, 29, v27
	v_dual_cndmask_b32 v27, v31, v27 :: v_dual_lshlrev_b32 v28, v28, v26
	s_delay_alu instid0(VALU_DEP_1) | instskip(NEXT) | instid1(VALU_DEP_2)
	v_and_b32_e32 v28, 7, v28
	v_lshl_add_u32 v27, v27, 10, 0x1c00
	s_delay_alu instid0(VALU_DEP_2) | instskip(NEXT) | instid1(VALU_DEP_1)
	v_cndmask_b32_e32 v24, v24, v28, vcc_lo
	v_lshlrev_b32_e32 v24, 7, v24
	s_delay_alu instid0(VALU_DEP_1)
	v_or3_b32 v24, v25, v27, v24
.LBB3_76:
	s_or_b32 exec_lo, exec_lo, s1
	v_lshrrev_b32_e32 v27, 24, v1
	s_mov_b32 s0, 0
	s_mov_b32 s2, exec_lo
                                        ; implicit-def: $sgpr1
	s_delay_alu instid0(VALU_DEP_1)
	v_cmpx_lt_i16_e32 0x7f, v27
	s_xor_b32 s2, exec_lo, s2
	s_cbranch_execnz .LBB3_463
; %bb.77:
	s_or_saveexec_b32 s2, s2
	v_mov_b32_e32 v25, s1
	s_xor_b32 exec_lo, exec_lo, s2
	s_cbranch_execnz .LBB3_466
.LBB3_78:
	s_or_b32 exec_lo, exec_lo, s2
	s_and_saveexec_b32 s1, s0
	s_cbranch_execz .LBB3_80
.LBB3_79:
	v_bfe_u32 v25, v1, 24, 3
	v_lshrrev_b32_e32 v31, 27, v1
	v_bfe_u32 v1, v1, 27, 4
	v_and_b32_e32 v26, 0x8000, v26
	s_delay_alu instid0(VALU_DEP_4) | instskip(NEXT) | instid1(VALU_DEP_1)
	v_clz_i32_u32_e32 v28, v25
	v_min_u32_e32 v28, 32, v28
	s_delay_alu instid0(VALU_DEP_1) | instskip(SKIP_1) | instid1(VALU_DEP_2)
	v_subrev_nc_u32_e32 v29, 28, v28
	v_sub_nc_u32_e32 v28, 29, v28
	v_lshlrev_b32_e32 v27, v29, v27
	v_and_b32_e32 v29, 15, v31
	s_delay_alu instid0(VALU_DEP_2) | instskip(NEXT) | instid1(VALU_DEP_2)
	v_and_b32_e32 v27, 7, v27
	v_cmp_eq_u16_e32 vcc_lo, 0, v29
	s_delay_alu instid0(VALU_DEP_2) | instskip(SKIP_1) | instid1(VALU_DEP_2)
	v_cndmask_b32_e32 v25, v25, v27, vcc_lo
	v_cndmask_b32_e32 v1, v1, v28, vcc_lo
	v_lshlrev_b32_e32 v25, 7, v25
	s_delay_alu instid0(VALU_DEP_2) | instskip(NEXT) | instid1(VALU_DEP_1)
	v_lshl_add_u32 v1, v1, 10, 0x1c00
	v_or3_b32 v25, v26, v1, v25
.LBB3_80:
	s_or_b32 exec_lo, exec_lo, s1
	v_and_b32_e32 v1, 0xff, v2
	s_mov_b32 s0, 0
	s_mov_b32 s2, exec_lo
                                        ; implicit-def: $sgpr1
	s_delay_alu instid0(VALU_DEP_1)
	v_cmpx_lt_i16_e32 0x7f, v1
	s_xor_b32 s2, exec_lo, s2
	s_cbranch_execnz .LBB3_467
; %bb.81:
	s_or_saveexec_b32 s2, s2
	v_mov_b32_e32 v26, s1
	s_xor_b32 exec_lo, exec_lo, s2
	s_cbranch_execnz .LBB3_470
.LBB3_82:
	s_or_b32 exec_lo, exec_lo, s2
	s_and_saveexec_b32 s1, s0
	s_cbranch_execz .LBB3_84
.LBB3_83:
	v_and_b32_e32 v1, 7, v2
	v_lshrrev_b16 v27, 3, v2
	s_delay_alu instid0(VALU_DEP_2) | instskip(NEXT) | instid1(VALU_DEP_1)
	v_clz_i32_u32_e32 v26, v1
	v_min_u32_e32 v26, 32, v26
	s_delay_alu instid0(VALU_DEP_1) | instskip(SKIP_2) | instid1(VALU_DEP_3)
	v_subrev_nc_u32_e32 v28, 28, v26
	v_sub_nc_u32_e32 v26, 29, v26
	v_and_b32_e32 v27, 15, v27
	v_lshlrev_b32_e32 v28, v28, v2
	s_delay_alu instid0(VALU_DEP_2) | instskip(SKIP_2) | instid1(VALU_DEP_4)
	v_and_b32_e32 v29, 0xffff, v27
	v_cmp_eq_u16_e32 vcc_lo, 0, v27
	v_lshlrev_b32_e32 v27, 8, v2
	v_and_b32_e32 v28, 7, v28
	s_delay_alu instid0(VALU_DEP_2) | instskip(NEXT) | instid1(VALU_DEP_2)
	v_dual_cndmask_b32 v26, v29, v26 :: v_dual_and_b32 v27, 0x8000, v27
	v_cndmask_b32_e32 v1, v1, v28, vcc_lo
	s_delay_alu instid0(VALU_DEP_2) | instskip(NEXT) | instid1(VALU_DEP_2)
	v_lshl_add_u32 v26, v26, 10, 0x1c00
	v_lshlrev_b32_e32 v1, 7, v1
	s_delay_alu instid0(VALU_DEP_1)
	v_or3_b32 v26, v27, v26, v1
.LBB3_84:
	s_or_b32 exec_lo, exec_lo, s1
	v_lshrrev_b32_e32 v1, 8, v2
	s_mov_b32 s0, 0
	s_mov_b32 s2, exec_lo
                                        ; implicit-def: $sgpr1
	s_delay_alu instid0(VALU_DEP_1) | instskip(NEXT) | instid1(VALU_DEP_1)
	v_and_b32_e32 v28, 0xff, v1
	v_cmpx_lt_i16_e32 0x7f, v28
	s_xor_b32 s2, exec_lo, s2
	s_cbranch_execnz .LBB3_471
; %bb.85:
	s_or_saveexec_b32 s2, s2
	v_mov_b32_e32 v27, s1
	s_xor_b32 exec_lo, exec_lo, s2
	s_cbranch_execnz .LBB3_474
.LBB3_86:
	s_or_b32 exec_lo, exec_lo, s2
	s_and_saveexec_b32 s1, s0
	s_cbranch_execz .LBB3_88
.LBB3_87:
	v_bfe_u32 v27, v2, 8, 3
	v_lshrrev_b16 v29, 3, v1
	s_delay_alu instid0(VALU_DEP_2) | instskip(NEXT) | instid1(VALU_DEP_1)
	v_clz_i32_u32_e32 v28, v27
	v_min_u32_e32 v28, 32, v28
	s_delay_alu instid0(VALU_DEP_1) | instskip(SKIP_2) | instid1(VALU_DEP_3)
	v_subrev_nc_u32_e32 v31, 28, v28
	v_sub_nc_u32_e32 v28, 29, v28
	v_and_b32_e32 v29, 15, v29
	v_lshlrev_b32_e32 v31, v31, v1
	s_delay_alu instid0(VALU_DEP_2) | instskip(NEXT) | instid1(VALU_DEP_2)
	v_cmp_eq_u16_e32 vcc_lo, 0, v29
	v_and_b32_e32 v31, 7, v31
	v_and_b32_e32 v32, 0xffff, v29
	;; [unrolled: 1-line block ×3, first 2 shown]
	s_delay_alu instid0(VALU_DEP_2) | instskip(NEXT) | instid1(VALU_DEP_1)
	v_dual_cndmask_b32 v27, v27, v31 :: v_dual_cndmask_b32 v28, v32, v28
	v_lshlrev_b32_e32 v27, 7, v27
	s_delay_alu instid0(VALU_DEP_2) | instskip(NEXT) | instid1(VALU_DEP_1)
	v_lshl_add_u32 v28, v28, 10, 0x1c00
	v_or3_b32 v27, v29, v28, v27
.LBB3_88:
	s_or_b32 exec_lo, exec_lo, s1
	v_lshrrev_b32_e32 v31, 16, v2
	s_mov_b32 s0, 0
	s_mov_b32 s2, exec_lo
                                        ; implicit-def: $sgpr1
	s_delay_alu instid0(VALU_DEP_1) | instskip(NEXT) | instid1(VALU_DEP_1)
	v_and_b32_e32 v29, 0xff, v31
	v_cmpx_lt_i16_e32 0x7f, v29
	s_xor_b32 s2, exec_lo, s2
	s_cbranch_execnz .LBB3_475
; %bb.89:
	s_or_saveexec_b32 s2, s2
	v_mov_b32_e32 v28, s1
	s_xor_b32 exec_lo, exec_lo, s2
	s_cbranch_execnz .LBB3_478
.LBB3_90:
	s_or_b32 exec_lo, exec_lo, s2
	s_and_saveexec_b32 s1, s0
	s_cbranch_execz .LBB3_92
.LBB3_91:
	v_bfe_u32 v28, v2, 16, 3
	v_lshrrev_b32_e32 v33, 19, v2
	v_bfe_u32 v34, v2, 19, 4
	v_and_b32_e32 v1, 0x8000, v1
	s_delay_alu instid0(VALU_DEP_4) | instskip(NEXT) | instid1(VALU_DEP_4)
	v_clz_i32_u32_e32 v29, v28
	v_and_b32_e32 v33, 15, v33
	s_delay_alu instid0(VALU_DEP_2) | instskip(NEXT) | instid1(VALU_DEP_2)
	v_min_u32_e32 v29, 32, v29
	v_cmp_eq_u16_e32 vcc_lo, 0, v33
	s_delay_alu instid0(VALU_DEP_2) | instskip(SKIP_1) | instid1(VALU_DEP_1)
	v_subrev_nc_u32_e32 v32, 28, v29
	v_sub_nc_u32_e32 v29, 29, v29
	v_dual_cndmask_b32 v29, v34, v29 :: v_dual_lshlrev_b32 v32, v32, v31
	s_delay_alu instid0(VALU_DEP_1) | instskip(NEXT) | instid1(VALU_DEP_2)
	v_and_b32_e32 v32, 7, v32
	v_lshl_add_u32 v29, v29, 10, 0x1c00
	s_delay_alu instid0(VALU_DEP_2) | instskip(NEXT) | instid1(VALU_DEP_1)
	v_cndmask_b32_e32 v28, v28, v32, vcc_lo
	v_lshlrev_b32_e32 v28, 7, v28
	s_delay_alu instid0(VALU_DEP_1)
	v_or3_b32 v28, v1, v29, v28
.LBB3_92:
	s_or_b32 exec_lo, exec_lo, s1
	v_lshrrev_b32_e32 v1, 24, v2
	s_mov_b32 s0, 0
	s_mov_b32 s2, exec_lo
                                        ; implicit-def: $sgpr1
	s_delay_alu instid0(VALU_DEP_1)
	v_cmpx_lt_i16_e32 0x7f, v1
	s_xor_b32 s2, exec_lo, s2
	s_cbranch_execnz .LBB3_479
; %bb.93:
	s_or_saveexec_b32 s2, s2
	v_mov_b32_e32 v29, s1
	s_xor_b32 exec_lo, exec_lo, s2
	s_cbranch_execnz .LBB3_482
.LBB3_94:
	s_or_b32 exec_lo, exec_lo, s2
	s_and_saveexec_b32 s1, s0
	s_cbranch_execz .LBB3_96
.LBB3_95:
	v_bfe_u32 v29, v2, 24, 3
	v_lshrrev_b32_e32 v34, 27, v2
	v_bfe_u32 v2, v2, 27, 4
	s_delay_alu instid0(VALU_DEP_3) | instskip(NEXT) | instid1(VALU_DEP_1)
	v_clz_i32_u32_e32 v32, v29
	v_min_u32_e32 v32, 32, v32
	s_delay_alu instid0(VALU_DEP_1) | instskip(SKIP_1) | instid1(VALU_DEP_2)
	v_subrev_nc_u32_e32 v33, 28, v32
	v_sub_nc_u32_e32 v32, 29, v32
	v_lshlrev_b32_e32 v1, v33, v1
	v_and_b32_e32 v33, 15, v34
	s_delay_alu instid0(VALU_DEP_1) | instskip(NEXT) | instid1(VALU_DEP_3)
	v_cmp_eq_u16_e32 vcc_lo, 0, v33
	v_dual_cndmask_b32 v2, v2, v32 :: v_dual_and_b32 v1, 7, v1
	s_delay_alu instid0(VALU_DEP_1) | instskip(NEXT) | instid1(VALU_DEP_2)
	v_lshl_add_u32 v2, v2, 10, 0x1c00
	v_cndmask_b32_e32 v1, v29, v1, vcc_lo
	v_and_b32_e32 v29, 0x8000, v31
	s_delay_alu instid0(VALU_DEP_2) | instskip(NEXT) | instid1(VALU_DEP_1)
	v_lshlrev_b32_e32 v1, 7, v1
	v_or3_b32 v29, v29, v2, v1
.LBB3_96:
	s_or_b32 exec_lo, exec_lo, s1
	v_add_nc_u32_e32 v1, s7, v30
	s_mov_b32 s0, 0
	s_mov_b32 s2, exec_lo
                                        ; implicit-def: $sgpr1
	buffer_load_b64 v[1:2], v1, s[8:11], 0 offen
	s_waitcnt vmcnt(0)
	v_and_b32_e32 v31, 0xff, v1
	s_delay_alu instid0(VALU_DEP_1)
	v_cmpx_lt_i16_e32 0x7f, v31
	s_xor_b32 s2, exec_lo, s2
	s_cbranch_execnz .LBB3_483
; %bb.97:
	s_or_saveexec_b32 s2, s2
	v_mov_b32_e32 v30, s1
	s_xor_b32 exec_lo, exec_lo, s2
	s_cbranch_execnz .LBB3_486
.LBB3_98:
	s_or_b32 exec_lo, exec_lo, s2
	s_and_saveexec_b32 s1, s0
	s_cbranch_execz .LBB3_100
.LBB3_99:
	v_lshrrev_b16 v32, 3, v1
	s_delay_alu instid0(VALU_DEP_1) | instskip(NEXT) | instid1(VALU_DEP_1)
	v_and_b32_e32 v32, 15, v32
	v_and_b32_e32 v34, 0xffff, v32
	v_cmp_eq_u16_e32 vcc_lo, 0, v32
	v_and_b32_e32 v30, 7, v1
	v_lshlrev_b32_e32 v32, 8, v1
	s_delay_alu instid0(VALU_DEP_2) | instskip(NEXT) | instid1(VALU_DEP_2)
	v_clz_i32_u32_e32 v31, v30
	v_and_b32_e32 v32, 0x8000, v32
	s_delay_alu instid0(VALU_DEP_2) | instskip(NEXT) | instid1(VALU_DEP_1)
	v_min_u32_e32 v31, 32, v31
	v_subrev_nc_u32_e32 v33, 28, v31
	v_sub_nc_u32_e32 v31, 29, v31
	s_delay_alu instid0(VALU_DEP_2) | instskip(NEXT) | instid1(VALU_DEP_2)
	v_lshlrev_b32_e32 v33, v33, v1
	v_cndmask_b32_e32 v31, v34, v31, vcc_lo
	s_delay_alu instid0(VALU_DEP_2) | instskip(NEXT) | instid1(VALU_DEP_2)
	v_and_b32_e32 v33, 7, v33
	v_lshl_add_u32 v31, v31, 10, 0x1c00
	s_delay_alu instid0(VALU_DEP_2) | instskip(NEXT) | instid1(VALU_DEP_1)
	v_cndmask_b32_e32 v30, v30, v33, vcc_lo
	v_lshlrev_b32_e32 v30, 7, v30
	s_delay_alu instid0(VALU_DEP_1)
	v_or3_b32 v30, v32, v31, v30
.LBB3_100:
	s_or_b32 exec_lo, exec_lo, s1
	v_lshrrev_b32_e32 v33, 8, v1
	s_mov_b32 s0, 0
	s_mov_b32 s2, exec_lo
                                        ; implicit-def: $sgpr1
	s_delay_alu instid0(VALU_DEP_1) | instskip(NEXT) | instid1(VALU_DEP_1)
	v_and_b32_e32 v32, 0xff, v33
	v_cmpx_lt_i16_e32 0x7f, v32
	s_xor_b32 s2, exec_lo, s2
	s_cbranch_execnz .LBB3_487
; %bb.101:
	s_or_saveexec_b32 s2, s2
	v_mov_b32_e32 v31, s1
	s_xor_b32 exec_lo, exec_lo, s2
	s_cbranch_execnz .LBB3_490
.LBB3_102:
	s_or_b32 exec_lo, exec_lo, s2
	s_and_saveexec_b32 s1, s0
	s_cbranch_execz .LBB3_104
.LBB3_103:
	v_bfe_u32 v31, v1, 8, 3
	v_lshrrev_b16 v34, 3, v33
	s_delay_alu instid0(VALU_DEP_2) | instskip(NEXT) | instid1(VALU_DEP_1)
	v_clz_i32_u32_e32 v32, v31
	v_min_u32_e32 v32, 32, v32
	s_delay_alu instid0(VALU_DEP_1) | instskip(SKIP_1) | instid1(VALU_DEP_2)
	v_subrev_nc_u32_e32 v35, 28, v32
	v_sub_nc_u32_e32 v32, 29, v32
	v_lshlrev_b32_e32 v35, v35, v33
	s_delay_alu instid0(VALU_DEP_1) | instskip(SKIP_1) | instid1(VALU_DEP_1)
	v_and_b32_e32 v35, 7, v35
	v_and_b32_e32 v34, 15, v34
	v_cmp_eq_u16_e32 vcc_lo, 0, v34
	s_delay_alu instid0(VALU_DEP_3) | instskip(SKIP_1) | instid1(VALU_DEP_2)
	v_dual_cndmask_b32 v31, v31, v35 :: v_dual_and_b32 v36, 0xffff, v34
	v_and_b32_e32 v34, 0x8000, v1
	v_dual_cndmask_b32 v32, v36, v32 :: v_dual_lshlrev_b32 v31, 7, v31
	s_delay_alu instid0(VALU_DEP_1) | instskip(NEXT) | instid1(VALU_DEP_1)
	v_lshl_add_u32 v32, v32, 10, 0x1c00
	v_or3_b32 v31, v34, v32, v31
.LBB3_104:
	s_or_b32 exec_lo, exec_lo, s1
	v_lshrrev_b32_e32 v34, 16, v1
	s_mov_b32 s0, 0
	s_mov_b32 s2, exec_lo
                                        ; implicit-def: $sgpr1
	s_delay_alu instid0(VALU_DEP_1) | instskip(NEXT) | instid1(VALU_DEP_1)
	v_and_b32_e32 v35, 0xff, v34
	v_cmpx_lt_i16_e32 0x7f, v35
	s_xor_b32 s2, exec_lo, s2
	s_cbranch_execnz .LBB3_491
; %bb.105:
	s_or_saveexec_b32 s2, s2
	v_mov_b32_e32 v32, s1
	s_xor_b32 exec_lo, exec_lo, s2
	s_cbranch_execnz .LBB3_494
.LBB3_106:
	s_or_b32 exec_lo, exec_lo, s2
	s_and_saveexec_b32 s1, s0
	s_cbranch_execz .LBB3_108
.LBB3_107:
	v_bfe_u32 v32, v1, 16, 3
	v_lshrrev_b32_e32 v37, 19, v1
	v_bfe_u32 v38, v1, 19, 4
	v_and_b32_e32 v33, 0x8000, v33
	s_delay_alu instid0(VALU_DEP_4) | instskip(NEXT) | instid1(VALU_DEP_4)
	v_clz_i32_u32_e32 v35, v32
	v_and_b32_e32 v37, 15, v37
	s_delay_alu instid0(VALU_DEP_2) | instskip(NEXT) | instid1(VALU_DEP_2)
	v_min_u32_e32 v35, 32, v35
	v_cmp_eq_u16_e32 vcc_lo, 0, v37
	s_delay_alu instid0(VALU_DEP_2) | instskip(SKIP_1) | instid1(VALU_DEP_1)
	v_subrev_nc_u32_e32 v36, 28, v35
	v_sub_nc_u32_e32 v35, 29, v35
	v_dual_cndmask_b32 v35, v38, v35 :: v_dual_lshlrev_b32 v36, v36, v34
	s_delay_alu instid0(VALU_DEP_1) | instskip(NEXT) | instid1(VALU_DEP_2)
	v_and_b32_e32 v36, 7, v36
	v_lshl_add_u32 v35, v35, 10, 0x1c00
	s_delay_alu instid0(VALU_DEP_2) | instskip(NEXT) | instid1(VALU_DEP_1)
	v_cndmask_b32_e32 v32, v32, v36, vcc_lo
	v_lshlrev_b32_e32 v32, 7, v32
	s_delay_alu instid0(VALU_DEP_1)
	v_or3_b32 v32, v33, v35, v32
.LBB3_108:
	s_or_b32 exec_lo, exec_lo, s1
	v_lshrrev_b32_e32 v35, 24, v1
	s_mov_b32 s0, 0
	s_mov_b32 s2, exec_lo
                                        ; implicit-def: $sgpr1
	s_delay_alu instid0(VALU_DEP_1)
	v_cmpx_lt_i16_e32 0x7f, v35
	s_xor_b32 s2, exec_lo, s2
	s_cbranch_execnz .LBB3_495
; %bb.109:
	s_or_saveexec_b32 s2, s2
	v_mov_b32_e32 v33, s1
	s_xor_b32 exec_lo, exec_lo, s2
	s_cbranch_execnz .LBB3_498
.LBB3_110:
	s_or_b32 exec_lo, exec_lo, s2
	s_and_saveexec_b32 s1, s0
	s_cbranch_execz .LBB3_112
.LBB3_111:
	v_bfe_u32 v33, v1, 24, 3
	v_lshrrev_b32_e32 v38, 27, v1
	v_bfe_u32 v1, v1, 27, 4
	v_and_b32_e32 v34, 0x8000, v34
	s_delay_alu instid0(VALU_DEP_4) | instskip(NEXT) | instid1(VALU_DEP_1)
	v_clz_i32_u32_e32 v36, v33
	v_min_u32_e32 v36, 32, v36
	s_delay_alu instid0(VALU_DEP_1) | instskip(SKIP_1) | instid1(VALU_DEP_2)
	v_subrev_nc_u32_e32 v37, 28, v36
	v_sub_nc_u32_e32 v36, 29, v36
	v_lshlrev_b32_e32 v35, v37, v35
	v_and_b32_e32 v37, 15, v38
	s_delay_alu instid0(VALU_DEP_2) | instskip(NEXT) | instid1(VALU_DEP_2)
	v_and_b32_e32 v35, 7, v35
	v_cmp_eq_u16_e32 vcc_lo, 0, v37
	s_delay_alu instid0(VALU_DEP_2) | instskip(SKIP_1) | instid1(VALU_DEP_2)
	v_cndmask_b32_e32 v33, v33, v35, vcc_lo
	v_cndmask_b32_e32 v1, v1, v36, vcc_lo
	v_lshlrev_b32_e32 v33, 7, v33
	s_delay_alu instid0(VALU_DEP_2) | instskip(NEXT) | instid1(VALU_DEP_1)
	v_lshl_add_u32 v1, v1, 10, 0x1c00
	v_or3_b32 v33, v34, v1, v33
.LBB3_112:
	s_or_b32 exec_lo, exec_lo, s1
	v_and_b32_e32 v34, 0xff, v2
	s_mov_b32 s0, 0
	s_mov_b32 s2, exec_lo
                                        ; implicit-def: $sgpr1
	s_delay_alu instid0(VALU_DEP_1)
	v_cmpx_lt_i16_e32 0x7f, v34
	s_xor_b32 s2, exec_lo, s2
	s_cbranch_execnz .LBB3_499
; %bb.113:
	s_or_saveexec_b32 s2, s2
	v_mov_b32_e32 v1, s1
	s_xor_b32 exec_lo, exec_lo, s2
	s_cbranch_execnz .LBB3_502
.LBB3_114:
	s_or_b32 exec_lo, exec_lo, s2
	s_and_saveexec_b32 s1, s0
	s_cbranch_execz .LBB3_116
.LBB3_115:
	v_and_b32_e32 v1, 7, v2
	v_lshrrev_b16 v35, 3, v2
	s_delay_alu instid0(VALU_DEP_2) | instskip(NEXT) | instid1(VALU_DEP_1)
	v_clz_i32_u32_e32 v34, v1
	v_min_u32_e32 v34, 32, v34
	s_delay_alu instid0(VALU_DEP_1) | instskip(SKIP_2) | instid1(VALU_DEP_3)
	v_subrev_nc_u32_e32 v36, 28, v34
	v_sub_nc_u32_e32 v34, 29, v34
	v_and_b32_e32 v35, 15, v35
	v_lshlrev_b32_e32 v36, v36, v2
	s_delay_alu instid0(VALU_DEP_2) | instskip(SKIP_2) | instid1(VALU_DEP_4)
	v_and_b32_e32 v37, 0xffff, v35
	v_cmp_eq_u16_e32 vcc_lo, 0, v35
	v_lshlrev_b32_e32 v35, 8, v2
	v_and_b32_e32 v36, 7, v36
	s_delay_alu instid0(VALU_DEP_2) | instskip(NEXT) | instid1(VALU_DEP_2)
	v_dual_cndmask_b32 v34, v37, v34 :: v_dual_and_b32 v35, 0x8000, v35
	v_cndmask_b32_e32 v1, v1, v36, vcc_lo
	s_delay_alu instid0(VALU_DEP_2) | instskip(NEXT) | instid1(VALU_DEP_2)
	v_lshl_add_u32 v34, v34, 10, 0x1c00
	v_lshlrev_b32_e32 v1, 7, v1
	s_delay_alu instid0(VALU_DEP_1)
	v_or3_b32 v1, v35, v34, v1
.LBB3_116:
	s_or_b32 exec_lo, exec_lo, s1
	v_lshrrev_b32_e32 v36, 8, v2
	s_mov_b32 s0, 0
	s_mov_b32 s2, exec_lo
                                        ; implicit-def: $sgpr1
	s_delay_alu instid0(VALU_DEP_1) | instskip(NEXT) | instid1(VALU_DEP_1)
	v_and_b32_e32 v35, 0xff, v36
	v_cmpx_lt_i16_e32 0x7f, v35
	s_xor_b32 s2, exec_lo, s2
	s_cbranch_execnz .LBB3_503
; %bb.117:
	s_or_saveexec_b32 s2, s2
	v_mov_b32_e32 v34, s1
	s_xor_b32 exec_lo, exec_lo, s2
	s_cbranch_execnz .LBB3_506
.LBB3_118:
	s_or_b32 exec_lo, exec_lo, s2
	s_and_saveexec_b32 s1, s0
	s_cbranch_execz .LBB3_120
.LBB3_119:
	v_bfe_u32 v34, v2, 8, 3
	v_lshrrev_b16 v37, 3, v36
	s_delay_alu instid0(VALU_DEP_2) | instskip(NEXT) | instid1(VALU_DEP_1)
	v_clz_i32_u32_e32 v35, v34
	v_min_u32_e32 v35, 32, v35
	s_delay_alu instid0(VALU_DEP_1) | instskip(SKIP_1) | instid1(VALU_DEP_2)
	v_subrev_nc_u32_e32 v38, 28, v35
	v_sub_nc_u32_e32 v35, 29, v35
	v_lshlrev_b32_e32 v38, v38, v36
	s_delay_alu instid0(VALU_DEP_1) | instskip(SKIP_1) | instid1(VALU_DEP_1)
	v_and_b32_e32 v38, 7, v38
	v_and_b32_e32 v37, 15, v37
	v_cmp_eq_u16_e32 vcc_lo, 0, v37
	s_delay_alu instid0(VALU_DEP_3) | instskip(SKIP_1) | instid1(VALU_DEP_2)
	v_dual_cndmask_b32 v34, v34, v38 :: v_dual_and_b32 v39, 0xffff, v37
	v_and_b32_e32 v37, 0x8000, v2
	v_dual_cndmask_b32 v35, v39, v35 :: v_dual_lshlrev_b32 v34, 7, v34
	s_delay_alu instid0(VALU_DEP_1) | instskip(NEXT) | instid1(VALU_DEP_1)
	v_lshl_add_u32 v35, v35, 10, 0x1c00
	v_or3_b32 v34, v37, v35, v34
.LBB3_120:
	s_or_b32 exec_lo, exec_lo, s1
	v_lshrrev_b32_e32 v37, 16, v2
	s_mov_b32 s0, 0
	s_mov_b32 s2, exec_lo
                                        ; implicit-def: $sgpr1
	s_delay_alu instid0(VALU_DEP_1) | instskip(NEXT) | instid1(VALU_DEP_1)
	v_and_b32_e32 v38, 0xff, v37
	v_cmpx_lt_i16_e32 0x7f, v38
	s_xor_b32 s2, exec_lo, s2
	s_cbranch_execnz .LBB3_507
; %bb.121:
	s_or_saveexec_b32 s2, s2
	v_mov_b32_e32 v35, s1
	s_xor_b32 exec_lo, exec_lo, s2
	s_cbranch_execnz .LBB3_510
.LBB3_122:
	s_or_b32 exec_lo, exec_lo, s2
	s_and_saveexec_b32 s1, s0
	s_cbranch_execz .LBB3_124
.LBB3_123:
	v_bfe_u32 v35, v2, 16, 3
	v_lshrrev_b32_e32 v40, 19, v2
	v_bfe_u32 v41, v2, 19, 4
	v_and_b32_e32 v36, 0x8000, v36
	s_delay_alu instid0(VALU_DEP_4) | instskip(NEXT) | instid1(VALU_DEP_4)
	v_clz_i32_u32_e32 v38, v35
	v_and_b32_e32 v40, 15, v40
	s_delay_alu instid0(VALU_DEP_2) | instskip(NEXT) | instid1(VALU_DEP_2)
	v_min_u32_e32 v38, 32, v38
	v_cmp_eq_u16_e32 vcc_lo, 0, v40
	s_delay_alu instid0(VALU_DEP_2) | instskip(SKIP_1) | instid1(VALU_DEP_1)
	v_subrev_nc_u32_e32 v39, 28, v38
	v_sub_nc_u32_e32 v38, 29, v38
	v_dual_cndmask_b32 v38, v41, v38 :: v_dual_lshlrev_b32 v39, v39, v37
	s_delay_alu instid0(VALU_DEP_1) | instskip(NEXT) | instid1(VALU_DEP_2)
	v_and_b32_e32 v39, 7, v39
	v_lshl_add_u32 v38, v38, 10, 0x1c00
	s_delay_alu instid0(VALU_DEP_2) | instskip(NEXT) | instid1(VALU_DEP_1)
	v_cndmask_b32_e32 v35, v35, v39, vcc_lo
	v_lshlrev_b32_e32 v35, 7, v35
	s_delay_alu instid0(VALU_DEP_1)
	v_or3_b32 v35, v36, v38, v35
.LBB3_124:
	s_or_b32 exec_lo, exec_lo, s1
	v_lshrrev_b32_e32 v38, 24, v2
	s_mov_b32 s0, 0
	s_mov_b32 s2, exec_lo
                                        ; implicit-def: $sgpr1
	s_delay_alu instid0(VALU_DEP_1)
	v_cmpx_lt_i16_e32 0x7f, v38
	s_xor_b32 s2, exec_lo, s2
	s_cbranch_execnz .LBB3_511
; %bb.125:
	s_or_saveexec_b32 s2, s2
	v_mov_b32_e32 v36, s1
	s_xor_b32 exec_lo, exec_lo, s2
	s_cbranch_execnz .LBB3_514
.LBB3_126:
	s_or_b32 exec_lo, exec_lo, s2
	s_and_saveexec_b32 s1, s0
	s_cbranch_execz .LBB3_128
.LBB3_127:
	v_bfe_u32 v36, v2, 24, 3
	v_lshrrev_b32_e32 v41, 27, v2
	v_bfe_u32 v2, v2, 27, 4
	v_and_b32_e32 v37, 0x8000, v37
	s_delay_alu instid0(VALU_DEP_4) | instskip(NEXT) | instid1(VALU_DEP_1)
	v_clz_i32_u32_e32 v39, v36
	v_min_u32_e32 v39, 32, v39
	s_delay_alu instid0(VALU_DEP_1) | instskip(SKIP_1) | instid1(VALU_DEP_2)
	v_subrev_nc_u32_e32 v40, 28, v39
	v_sub_nc_u32_e32 v39, 29, v39
	v_lshlrev_b32_e32 v38, v40, v38
	v_and_b32_e32 v40, 15, v41
	s_delay_alu instid0(VALU_DEP_2) | instskip(NEXT) | instid1(VALU_DEP_2)
	v_and_b32_e32 v38, 7, v38
	v_cmp_eq_u16_e32 vcc_lo, 0, v40
	s_delay_alu instid0(VALU_DEP_2) | instskip(SKIP_1) | instid1(VALU_DEP_2)
	v_cndmask_b32_e32 v36, v36, v38, vcc_lo
	v_cndmask_b32_e32 v2, v2, v39, vcc_lo
	v_lshlrev_b32_e32 v36, 7, v36
	s_delay_alu instid0(VALU_DEP_2) | instskip(NEXT) | instid1(VALU_DEP_1)
	v_lshl_add_u32 v2, v2, 10, 0x1c00
	v_or3_b32 v36, v37, v2, v36
.LBB3_128:
	s_or_b32 exec_lo, exec_lo, s1
	v_lshrrev_b32_e32 v134, 1, v0
	v_and_b32_e32 v136, 15, v0
	v_perm_b32 v142, v9, v8, 0x5040100
	v_mov_b32_e32 v9, 0
	v_perm_b32 v143, v11, v10, 0x5040100
	v_and_b32_e32 v137, 0x7e, v134
	s_add_u32 s0, 0, 0
	s_addc_u32 s0, s5, 0x7fffffff
	v_mov_b32_e32 v10, v9
	s_mul_i32 s1, s0, s16
	v_dual_mov_b32 v11, v9 :: v_dual_add_nc_u32 v2, s18, v137
	s_add_i32 s2, s6, s1
	s_mov_b32 s3, 0x31004000
	s_mov_b32 s0, s14
	s_delay_alu instid0(VALU_DEP_1)
	v_mul_lo_u32 v165, v2, s16
	s_mov_b32 s1, s15
	s_lshl_b32 s2, s2, 1
	v_perm_b32 v144, v13, v12, 0x5040100
	v_lshlrev_b32_e32 v5, 4, v5
	v_perm_b32 v141, v7, v6, 0x5040100
	v_add_nc_u32_e32 v6, 3, v4
	v_perm_b32 v163, v34, v1, 0x5040100
	v_add_nc_u32_e32 v2, v165, v133
	v_mul_u32_u24_e32 v1, 0x1010, v132
	v_add_nc_u32_e32 v4, 2, v4
	v_dual_mov_b32 v12, v9 :: v_dual_lshlrev_b32 v135, 3, v0
	s_delay_alu instid0(VALU_DEP_4)
	v_dual_mov_b32 v13, v9 :: v_dual_lshlrev_b32 v166, 1, v2
	v_add_lshl_u32 v2, v2, s16, 1
	v_and_b32_e32 v37, 0x80, v0
	v_perm_b32 v154, v17, v16, 0x5040100
	s_clause 0x1
	buffer_load_b128 v[145:148], v166, s[0:3], 0 offen
	buffer_load_b128 v[149:152], v2, s[0:3], 0 offen
	v_bfe_u32 v2, v0, 1, 3
	v_mov_b32_e32 v16, v9
	v_mad_u32_u24 v169, 0x1010, v132, v5
	v_perm_b32 v156, v21, v20, 0x5040100
	v_perm_b32 v155, v19, v18, 0x5040100
	;; [unrolled: 1-line block ×3, first 2 shown]
	v_mov_b32_e32 v14, v9
	v_mov_b32_e32 v15, v9
	v_mad_u64_u32 v[129:130], null, s7, v6, 32
	v_add_nc_u32_e32 v140, v1, v5
	v_mov_b32_e32 v1, v9
	v_mad_u64_u32 v[130:131], null, s7, v4, 32
	v_mul_u32_u24_e32 v167, 0x810, v132
	v_and_or_b32 v168, v135, 8, v2
	v_lshlrev_b32_e32 v170, 1, v37
	v_dual_mov_b32 v4, v9 :: v_dual_and_b32 v171, 0x300, v135
	v_dual_mov_b32 v6, v9 :: v_dual_lshlrev_b32 v131, 4, v137
	ds_store_b128 v169, v[141:144]
	ds_store_b128 v169, v[153:156] offset:16
	v_add3_u32 v143, v165, s16, v133
	v_perm_b32 v160, v29, v28, 0x5040100
	v_perm_b32 v159, v27, v26, 0x5040100
	;; [unrolled: 1-line block ×7, first 2 shown]
	v_add3_u32 v138, v3, s7, 32
	v_dual_mov_b32 v2, v9 :: v_dual_add_nc_u32 v139, 32, v3
	v_mov_b32_e32 v3, v9
	v_dual_mov_b32 v5, v9 :: v_dual_add_nc_u32 v142, v131, v167
	v_dual_mov_b32 v7, v9 :: v_dual_add_nc_u32 v144, 64, v166
	v_mov_b32_e32 v8, v9
	v_mov_b32_e32 v17, v9
	;; [unrolled: 1-line block ×113, first 2 shown]
	v_lshl_or_b32 v137, v168, 4, v170
	v_lshl_or_b32 v141, v136, 4, v171
	v_lshl_add_u32 v143, v143, 1, 64
	s_add_i32 s21, s21, -1
	v_mad_u32_u24 v132, 0x810, v132, v131
	s_max_i32 s6, s21, 1
	ds_store_b128 v169, v[157:160] offset:32
	ds_store_b128 v169, v[161:164] offset:48
	s_waitcnt vmcnt(1)
	ds_store_b128 v132, v[145:148] offset:16432
	s_waitcnt vmcnt(0)
	ds_store_b128 v132, v[149:152] offset:16448
	s_branch .LBB3_130
.LBB3_129:                              ;   in Loop: Header=BB3_130 Depth=1
	s_or_b32 exec_lo, exec_lo, s14
	s_waitcnt lgkmcnt(0)
	s_barrier
	ds_load_b128 v[176:179], v141 offset:16432
	ds_load_b128 v[180:183], v141 offset:18496
	;; [unrolled: 1-line block ×3, first 2 shown]
	ds_load_b128 v[184:187], v137
	ds_load_b128 v[192:195], v141 offset:17456
	ds_load_b128 v[196:199], v141 offset:19520
	v_perm_b32 v159, v160, v159, 0x5040100
	v_perm_b32 v158, v158, v157, 0x5040100
	;; [unrolled: 1-line block ×7, first 2 shown]
	v_add_nc_u32_e32 v129, 32, v129
	v_add_nc_u32_e32 v130, 32, v130
	;; [unrolled: 1-line block ×4, first 2 shown]
	v_perm_b32 v160, v175, v174, 0x5040100
	s_add_i32 s6, s6, -1
	s_delay_alu instid0(SALU_CYCLE_1)
	s_cmp_lg_u32 s6, 0
	s_waitcnt lgkmcnt(2)
	v_wmma_f32_16x16x16_f16 v[121:128], v[184:191], v[176:183], v[121:128]
	s_waitcnt lgkmcnt(0)
	v_wmma_f32_16x16x16_f16 v[113:120], v[184:191], v[192:199], v[113:120]
	ds_load_b128 v[184:187], v137 offset:512
	ds_load_b128 v[188:191], v137 offset:4624
	s_waitcnt lgkmcnt(0)
	v_wmma_f32_16x16x16_f16 v[97:104], v[184:191], v[176:183], v[97:104]
	v_wmma_f32_16x16x16_f16 v[105:112], v[184:191], v[192:199], v[105:112]
	ds_load_b128 v[188:191], v137 offset:5136
	ds_load_b128 v[184:187], v137 offset:1024
	s_waitcnt lgkmcnt(0)
	v_wmma_f32_16x16x16_f16 v[89:96], v[184:191], v[176:183], v[89:96]
	;; [unrolled: 5-line block ×7, first 2 shown]
	v_wmma_f32_16x16x16_f16 v[9:16], v[184:191], v[192:199], v[9:16]
	ds_load_b128 v[176:179], v141 offset:20560
	ds_load_b128 v[180:183], v141 offset:22624
	ds_load_b128 v[188:191], v137 offset:12336
	ds_load_b128 v[184:187], v137 offset:8224
	ds_load_b128 v[192:195], v141 offset:21584
	ds_load_b128 v[196:199], v141 offset:23648
	s_waitcnt lgkmcnt(2)
	v_wmma_f32_16x16x16_f16 v[121:128], v[184:191], v[176:183], v[121:128]
	s_waitcnt lgkmcnt(0)
	v_wmma_f32_16x16x16_f16 v[113:120], v[184:191], v[192:199], v[113:120]
	ds_load_b128 v[184:187], v137 offset:8736
	ds_load_b128 v[188:191], v137 offset:12848
	s_waitcnt lgkmcnt(0)
	v_wmma_f32_16x16x16_f16 v[97:104], v[184:191], v[176:183], v[97:104]
	v_wmma_f32_16x16x16_f16 v[105:112], v[184:191], v[192:199], v[105:112]
	ds_load_b128 v[188:191], v137 offset:13360
	ds_load_b128 v[184:187], v137 offset:9248
	s_waitcnt lgkmcnt(0)
	v_wmma_f32_16x16x16_f16 v[89:96], v[184:191], v[176:183], v[89:96]
	;; [unrolled: 5-line block ×6, first 2 shown]
	v_wmma_f32_16x16x16_f16 v[17:24], v[184:191], v[192:199], v[17:24]
	v_perm_b32 v187, v152, v151, 0x5040100
	v_perm_b32 v186, v150, v149, 0x5040100
	;; [unrolled: 1-line block ×4, first 2 shown]
	ds_load_b128 v[145:148], v137 offset:11808
	ds_load_b128 v[149:152], v137 offset:15920
	s_clause 0x1
	buffer_load_b128 v[188:191], v144, s[0:3], 0 offen
	buffer_load_b128 v[200:203], v143, s[0:3], 0 offen
	s_waitcnt vmcnt(0) lgkmcnt(0)
	s_barrier
	ds_store_b128 v140, v[184:187]
	ds_store_b128 v140, v[156:159] offset:16
	v_perm_b32 v156, v168, v167, 0x5040100
	v_add_nc_u32_e32 v143, 64, v143
	v_add_nc_u32_e32 v144, 64, v144
	v_perm_b32 v159, v173, v131, 0x5040100
	v_perm_b32 v158, v172, v171, 0x5040100
	;; [unrolled: 1-line block ×3, first 2 shown]
	ds_store_b128 v140, v[153:156] offset:32
	ds_store_b128 v140, v[157:160] offset:48
	;; [unrolled: 1-line block ×4, first 2 shown]
	v_wmma_f32_16x16x16_f16 v[1:8], v[145:152], v[176:183], v[1:8]
	v_wmma_f32_16x16x16_f16 v[9:16], v[145:152], v[192:199], v[9:16]
	s_cbranch_scc0 .LBB3_386
.LBB3_130:                              ; =>This Inner Loop Header: Depth=1
	v_add_nc_u32_e32 v131, v133, v139
	s_mov_b32 s7, 0
	s_mov_b32 s15, exec_lo
                                        ; implicit-def: $sgpr14
	buffer_load_b64 v[131:132], v131, s[8:11], 0 offen
	s_waitcnt vmcnt(0)
	v_and_b32_e32 v146, 0xff, v131
	s_delay_alu instid0(VALU_DEP_1)
	v_cmpx_lt_i16_e64 0x7f, v146
	s_xor_b32 s15, exec_lo, s15
	s_cbranch_execnz .LBB3_257
; %bb.131:                              ;   in Loop: Header=BB3_130 Depth=1
	s_or_saveexec_b32 s15, s15
	v_mov_b32_e32 v145, s14
	s_xor_b32 exec_lo, exec_lo, s15
	s_cbranch_execnz .LBB3_260
.LBB3_132:                              ;   in Loop: Header=BB3_130 Depth=1
	s_or_b32 exec_lo, exec_lo, s15
	s_and_saveexec_b32 s14, s7
	s_cbranch_execz .LBB3_134
.LBB3_133:                              ;   in Loop: Header=BB3_130 Depth=1
	v_lshrrev_b16 v147, 3, v131
	s_delay_alu instid0(VALU_DEP_1) | instskip(NEXT) | instid1(VALU_DEP_1)
	v_and_b32_e32 v147, 15, v147
	v_and_b32_e32 v149, 0xffff, v147
	v_cmp_eq_u16_e64 vcc_lo, 0, v147
	v_and_b32_e32 v145, 7, v131
	v_lshlrev_b32_e32 v147, 8, v131
	s_delay_alu instid0(VALU_DEP_2) | instskip(NEXT) | instid1(VALU_DEP_2)
	v_clz_i32_u32_e32 v146, v145
	v_and_b32_e32 v147, 0x8000, v147
	s_delay_alu instid0(VALU_DEP_2) | instskip(NEXT) | instid1(VALU_DEP_1)
	v_min_u32_e32 v146, 32, v146
	v_subrev_nc_u32_e32 v148, 28, v146
	v_sub_nc_u32_e32 v146, 29, v146
	s_delay_alu instid0(VALU_DEP_2) | instskip(NEXT) | instid1(VALU_DEP_2)
	v_lshlrev_b32_e32 v148, v148, v131
	v_cndmask_b32_e32 v146, v149, v146, vcc_lo
	s_delay_alu instid0(VALU_DEP_2) | instskip(NEXT) | instid1(VALU_DEP_2)
	v_and_b32_e32 v148, 7, v148
	v_lshl_add_u32 v146, v146, 10, 0x1c00
	s_delay_alu instid0(VALU_DEP_2) | instskip(NEXT) | instid1(VALU_DEP_1)
	v_cndmask_b32_e32 v145, v145, v148, vcc_lo
	v_lshlrev_b32_e32 v145, 7, v145
	s_delay_alu instid0(VALU_DEP_1)
	v_or3_b32 v145, v147, v146, v145
.LBB3_134:                              ;   in Loop: Header=BB3_130 Depth=1
	s_or_b32 exec_lo, exec_lo, s14
	v_lshrrev_b32_e32 v148, 8, v131
	s_mov_b32 s7, 0
	s_mov_b32 s15, exec_lo
                                        ; implicit-def: $sgpr14
	s_delay_alu instid0(VALU_DEP_1) | instskip(NEXT) | instid1(VALU_DEP_1)
	v_and_b32_e32 v147, 0xff, v148
	v_cmpx_lt_i16_e64 0x7f, v147
	s_xor_b32 s15, exec_lo, s15
	s_cbranch_execnz .LBB3_261
; %bb.135:                              ;   in Loop: Header=BB3_130 Depth=1
	s_or_saveexec_b32 s15, s15
	v_mov_b32_e32 v146, s14
	s_xor_b32 exec_lo, exec_lo, s15
	s_cbranch_execnz .LBB3_264
.LBB3_136:                              ;   in Loop: Header=BB3_130 Depth=1
	s_or_b32 exec_lo, exec_lo, s15
	s_and_saveexec_b32 s14, s7
	s_cbranch_execz .LBB3_138
.LBB3_137:                              ;   in Loop: Header=BB3_130 Depth=1
	v_bfe_u32 v146, v131, 8, 3
	v_lshrrev_b16 v149, 3, v148
	s_delay_alu instid0(VALU_DEP_2) | instskip(NEXT) | instid1(VALU_DEP_1)
	v_clz_i32_u32_e32 v147, v146
	v_min_u32_e32 v147, 32, v147
	s_delay_alu instid0(VALU_DEP_1) | instskip(SKIP_1) | instid1(VALU_DEP_2)
	v_subrev_nc_u32_e32 v150, 28, v147
	v_sub_nc_u32_e32 v147, 29, v147
	v_lshlrev_b32_e32 v150, v150, v148
	s_delay_alu instid0(VALU_DEP_1) | instskip(SKIP_1) | instid1(VALU_DEP_1)
	v_and_b32_e32 v150, 7, v150
	v_and_b32_e32 v149, 15, v149
	v_cmp_eq_u16_e64 vcc_lo, 0, v149
	s_delay_alu instid0(VALU_DEP_3) | instskip(SKIP_1) | instid1(VALU_DEP_2)
	v_dual_cndmask_b32 v146, v146, v150 :: v_dual_and_b32 v151, 0xffff, v149
	v_and_b32_e32 v149, 0x8000, v131
	v_dual_cndmask_b32 v147, v151, v147 :: v_dual_lshlrev_b32 v146, 7, v146
	s_delay_alu instid0(VALU_DEP_1) | instskip(NEXT) | instid1(VALU_DEP_1)
	v_lshl_add_u32 v147, v147, 10, 0x1c00
	v_or3_b32 v146, v149, v147, v146
.LBB3_138:                              ;   in Loop: Header=BB3_130 Depth=1
	s_or_b32 exec_lo, exec_lo, s14
	v_lshrrev_b32_e32 v149, 16, v131
	s_mov_b32 s7, 0
	s_mov_b32 s15, exec_lo
                                        ; implicit-def: $sgpr14
	s_delay_alu instid0(VALU_DEP_1) | instskip(NEXT) | instid1(VALU_DEP_1)
	v_and_b32_e32 v150, 0xff, v149
	v_cmpx_lt_i16_e64 0x7f, v150
	s_xor_b32 s15, exec_lo, s15
	s_cbranch_execnz .LBB3_265
; %bb.139:                              ;   in Loop: Header=BB3_130 Depth=1
	s_or_saveexec_b32 s15, s15
	v_mov_b32_e32 v147, s14
	s_xor_b32 exec_lo, exec_lo, s15
	s_cbranch_execnz .LBB3_268
.LBB3_140:                              ;   in Loop: Header=BB3_130 Depth=1
	s_or_b32 exec_lo, exec_lo, s15
	s_and_saveexec_b32 s14, s7
	s_cbranch_execz .LBB3_142
.LBB3_141:                              ;   in Loop: Header=BB3_130 Depth=1
	v_bfe_u32 v147, v131, 16, 3
	v_lshrrev_b32_e32 v152, 19, v131
	v_bfe_u32 v153, v131, 19, 4
	v_and_b32_e32 v148, 0x8000, v148
	s_delay_alu instid0(VALU_DEP_4) | instskip(NEXT) | instid1(VALU_DEP_4)
	v_clz_i32_u32_e32 v150, v147
	v_and_b32_e32 v152, 15, v152
	s_delay_alu instid0(VALU_DEP_2) | instskip(NEXT) | instid1(VALU_DEP_2)
	v_min_u32_e32 v150, 32, v150
	v_cmp_eq_u16_e64 vcc_lo, 0, v152
	s_delay_alu instid0(VALU_DEP_2) | instskip(SKIP_1) | instid1(VALU_DEP_1)
	v_subrev_nc_u32_e32 v151, 28, v150
	v_sub_nc_u32_e32 v150, 29, v150
	v_dual_cndmask_b32 v150, v153, v150 :: v_dual_lshlrev_b32 v151, v151, v149
	s_delay_alu instid0(VALU_DEP_1) | instskip(NEXT) | instid1(VALU_DEP_2)
	v_and_b32_e32 v151, 7, v151
	v_lshl_add_u32 v150, v150, 10, 0x1c00
	s_delay_alu instid0(VALU_DEP_2) | instskip(NEXT) | instid1(VALU_DEP_1)
	v_cndmask_b32_e32 v147, v147, v151, vcc_lo
	v_lshlrev_b32_e32 v147, 7, v147
	s_delay_alu instid0(VALU_DEP_1)
	v_or3_b32 v147, v148, v150, v147
.LBB3_142:                              ;   in Loop: Header=BB3_130 Depth=1
	s_or_b32 exec_lo, exec_lo, s14
	v_lshrrev_b32_e32 v150, 24, v131
	s_mov_b32 s7, 0
	s_mov_b32 s15, exec_lo
                                        ; implicit-def: $sgpr14
	s_delay_alu instid0(VALU_DEP_1)
	v_cmpx_lt_i16_e64 0x7f, v150
	s_xor_b32 s15, exec_lo, s15
	s_cbranch_execnz .LBB3_269
; %bb.143:                              ;   in Loop: Header=BB3_130 Depth=1
	s_or_saveexec_b32 s15, s15
	v_mov_b32_e32 v148, s14
	s_xor_b32 exec_lo, exec_lo, s15
	s_cbranch_execnz .LBB3_272
.LBB3_144:                              ;   in Loop: Header=BB3_130 Depth=1
	s_or_b32 exec_lo, exec_lo, s15
	s_and_saveexec_b32 s14, s7
	s_cbranch_execz .LBB3_146
.LBB3_145:                              ;   in Loop: Header=BB3_130 Depth=1
	v_bfe_u32 v148, v131, 24, 3
	v_lshrrev_b32_e32 v153, 27, v131
	v_bfe_u32 v131, v131, 27, 4
	v_and_b32_e32 v149, 0x8000, v149
	s_delay_alu instid0(VALU_DEP_4) | instskip(NEXT) | instid1(VALU_DEP_1)
	v_clz_i32_u32_e32 v151, v148
	v_min_u32_e32 v151, 32, v151
	s_delay_alu instid0(VALU_DEP_1) | instskip(SKIP_1) | instid1(VALU_DEP_2)
	v_subrev_nc_u32_e32 v152, 28, v151
	v_sub_nc_u32_e32 v151, 29, v151
	v_lshlrev_b32_e32 v150, v152, v150
	v_and_b32_e32 v152, 15, v153
	s_delay_alu instid0(VALU_DEP_1) | instskip(NEXT) | instid1(VALU_DEP_3)
	v_cmp_eq_u16_e64 vcc_lo, 0, v152
	v_dual_cndmask_b32 v131, v131, v151 :: v_dual_and_b32 v150, 7, v150
	s_delay_alu instid0(VALU_DEP_1) | instskip(NEXT) | instid1(VALU_DEP_2)
	v_lshl_add_u32 v131, v131, 10, 0x1c00
	v_cndmask_b32_e32 v148, v148, v150, vcc_lo
	s_delay_alu instid0(VALU_DEP_1) | instskip(NEXT) | instid1(VALU_DEP_1)
	v_lshlrev_b32_e32 v148, 7, v148
	v_or3_b32 v148, v149, v131, v148
.LBB3_146:                              ;   in Loop: Header=BB3_130 Depth=1
	s_or_b32 exec_lo, exec_lo, s14
	v_and_b32_e32 v131, 0xff, v132
	s_mov_b32 s7, 0
	s_mov_b32 s15, exec_lo
                                        ; implicit-def: $sgpr14
	s_delay_alu instid0(VALU_DEP_1)
	v_cmpx_lt_i16_e64 0x7f, v131
	s_xor_b32 s15, exec_lo, s15
	s_cbranch_execnz .LBB3_273
; %bb.147:                              ;   in Loop: Header=BB3_130 Depth=1
	s_or_saveexec_b32 s15, s15
	v_mov_b32_e32 v149, s14
	s_xor_b32 exec_lo, exec_lo, s15
	s_cbranch_execnz .LBB3_276
.LBB3_148:                              ;   in Loop: Header=BB3_130 Depth=1
	s_or_b32 exec_lo, exec_lo, s15
	s_and_saveexec_b32 s14, s7
	s_cbranch_execz .LBB3_150
.LBB3_149:                              ;   in Loop: Header=BB3_130 Depth=1
	v_and_b32_e32 v131, 7, v132
	v_lshrrev_b16 v150, 3, v132
	s_delay_alu instid0(VALU_DEP_2) | instskip(NEXT) | instid1(VALU_DEP_1)
	v_clz_i32_u32_e32 v149, v131
	v_min_u32_e32 v149, 32, v149
	s_delay_alu instid0(VALU_DEP_1) | instskip(SKIP_1) | instid1(VALU_DEP_2)
	v_subrev_nc_u32_e32 v151, 28, v149
	v_sub_nc_u32_e32 v149, 29, v149
	v_lshlrev_b32_e32 v151, v151, v132
	s_delay_alu instid0(VALU_DEP_1) | instskip(SKIP_1) | instid1(VALU_DEP_1)
	v_and_b32_e32 v151, 7, v151
	v_and_b32_e32 v150, 15, v150
	v_cmp_eq_u16_e64 vcc_lo, 0, v150
	s_delay_alu instid0(VALU_DEP_3) | instskip(SKIP_1) | instid1(VALU_DEP_2)
	v_dual_cndmask_b32 v131, v131, v151 :: v_dual_and_b32 v152, 0xffff, v150
	v_lshlrev_b32_e32 v150, 8, v132
	v_lshlrev_b32_e32 v131, 7, v131
	s_delay_alu instid0(VALU_DEP_2) | instskip(NEXT) | instid1(VALU_DEP_1)
	v_dual_cndmask_b32 v149, v152, v149 :: v_dual_and_b32 v150, 0x8000, v150
	v_lshl_add_u32 v149, v149, 10, 0x1c00
	s_delay_alu instid0(VALU_DEP_1)
	v_or3_b32 v149, v150, v149, v131
.LBB3_150:                              ;   in Loop: Header=BB3_130 Depth=1
	s_or_b32 exec_lo, exec_lo, s14
	v_lshrrev_b32_e32 v131, 8, v132
	s_mov_b32 s7, 0
	s_mov_b32 s15, exec_lo
                                        ; implicit-def: $sgpr14
	s_delay_alu instid0(VALU_DEP_1) | instskip(NEXT) | instid1(VALU_DEP_1)
	v_and_b32_e32 v151, 0xff, v131
	v_cmpx_lt_i16_e64 0x7f, v151
	s_xor_b32 s15, exec_lo, s15
	s_cbranch_execnz .LBB3_277
; %bb.151:                              ;   in Loop: Header=BB3_130 Depth=1
	s_or_saveexec_b32 s15, s15
	v_mov_b32_e32 v150, s14
	s_xor_b32 exec_lo, exec_lo, s15
	s_cbranch_execnz .LBB3_280
.LBB3_152:                              ;   in Loop: Header=BB3_130 Depth=1
	s_or_b32 exec_lo, exec_lo, s15
	s_and_saveexec_b32 s14, s7
	s_cbranch_execz .LBB3_154
.LBB3_153:                              ;   in Loop: Header=BB3_130 Depth=1
	v_bfe_u32 v150, v132, 8, 3
	v_lshrrev_b16 v152, 3, v131
	s_delay_alu instid0(VALU_DEP_2) | instskip(NEXT) | instid1(VALU_DEP_1)
	v_clz_i32_u32_e32 v151, v150
	v_min_u32_e32 v151, 32, v151
	s_delay_alu instid0(VALU_DEP_1) | instskip(SKIP_2) | instid1(VALU_DEP_3)
	v_subrev_nc_u32_e32 v153, 28, v151
	v_sub_nc_u32_e32 v151, 29, v151
	v_and_b32_e32 v152, 15, v152
	v_lshlrev_b32_e32 v153, v153, v131
	s_delay_alu instid0(VALU_DEP_2) | instskip(SKIP_2) | instid1(VALU_DEP_4)
	v_and_b32_e32 v154, 0xffff, v152
	v_cmp_eq_u16_e64 vcc_lo, 0, v152
	v_and_b32_e32 v152, 0x8000, v132
	v_and_b32_e32 v153, 7, v153
	s_delay_alu instid0(VALU_DEP_4) | instskip(NEXT) | instid1(VALU_DEP_2)
	v_cndmask_b32_e32 v151, v154, v151, vcc_lo
	v_cndmask_b32_e32 v150, v150, v153, vcc_lo
	s_delay_alu instid0(VALU_DEP_2) | instskip(NEXT) | instid1(VALU_DEP_2)
	v_lshl_add_u32 v151, v151, 10, 0x1c00
	v_lshlrev_b32_e32 v150, 7, v150
	s_delay_alu instid0(VALU_DEP_1)
	v_or3_b32 v150, v152, v151, v150
.LBB3_154:                              ;   in Loop: Header=BB3_130 Depth=1
	s_or_b32 exec_lo, exec_lo, s14
	v_lshrrev_b32_e32 v153, 16, v132
	s_mov_b32 s7, 0
	s_mov_b32 s15, exec_lo
                                        ; implicit-def: $sgpr14
	s_delay_alu instid0(VALU_DEP_1) | instskip(NEXT) | instid1(VALU_DEP_1)
	v_and_b32_e32 v152, 0xff, v153
	v_cmpx_lt_i16_e64 0x7f, v152
	s_xor_b32 s15, exec_lo, s15
	s_cbranch_execnz .LBB3_281
; %bb.155:                              ;   in Loop: Header=BB3_130 Depth=1
	s_or_saveexec_b32 s15, s15
	v_mov_b32_e32 v151, s14
	s_xor_b32 exec_lo, exec_lo, s15
	s_cbranch_execnz .LBB3_284
.LBB3_156:                              ;   in Loop: Header=BB3_130 Depth=1
	s_or_b32 exec_lo, exec_lo, s15
	s_and_saveexec_b32 s14, s7
	s_cbranch_execz .LBB3_158
.LBB3_157:                              ;   in Loop: Header=BB3_130 Depth=1
	v_bfe_u32 v151, v132, 16, 3
	v_lshrrev_b32_e32 v155, 19, v132
	v_bfe_u32 v156, v132, 19, 4
	v_and_b32_e32 v131, 0x8000, v131
	s_delay_alu instid0(VALU_DEP_4) | instskip(NEXT) | instid1(VALU_DEP_1)
	v_clz_i32_u32_e32 v152, v151
	v_min_u32_e32 v152, 32, v152
	s_delay_alu instid0(VALU_DEP_1) | instskip(SKIP_2) | instid1(VALU_DEP_3)
	v_subrev_nc_u32_e32 v154, 28, v152
	v_sub_nc_u32_e32 v152, 29, v152
	v_and_b32_e32 v155, 15, v155
	v_lshlrev_b32_e32 v154, v154, v153
	s_delay_alu instid0(VALU_DEP_2) | instskip(NEXT) | instid1(VALU_DEP_2)
	v_cmp_eq_u16_e64 vcc_lo, 0, v155
	v_and_b32_e32 v154, 7, v154
	s_delay_alu instid0(VALU_DEP_1) | instskip(NEXT) | instid1(VALU_DEP_1)
	v_dual_cndmask_b32 v152, v156, v152 :: v_dual_cndmask_b32 v151, v151, v154
	v_lshl_add_u32 v152, v152, 10, 0x1c00
	s_delay_alu instid0(VALU_DEP_2) | instskip(NEXT) | instid1(VALU_DEP_1)
	v_lshlrev_b32_e32 v151, 7, v151
	v_or3_b32 v151, v131, v152, v151
.LBB3_158:                              ;   in Loop: Header=BB3_130 Depth=1
	s_or_b32 exec_lo, exec_lo, s14
	v_lshrrev_b32_e32 v131, 24, v132
	s_mov_b32 s7, 0
	s_mov_b32 s15, exec_lo
                                        ; implicit-def: $sgpr14
	s_delay_alu instid0(VALU_DEP_1)
	v_cmpx_lt_i16_e64 0x7f, v131
	s_xor_b32 s15, exec_lo, s15
	s_cbranch_execnz .LBB3_285
; %bb.159:                              ;   in Loop: Header=BB3_130 Depth=1
	s_or_saveexec_b32 s15, s15
	v_mov_b32_e32 v152, s14
	s_xor_b32 exec_lo, exec_lo, s15
	s_cbranch_execnz .LBB3_288
.LBB3_160:                              ;   in Loop: Header=BB3_130 Depth=1
	s_or_b32 exec_lo, exec_lo, s15
	s_and_saveexec_b32 s14, s7
	s_cbranch_execz .LBB3_162
.LBB3_161:                              ;   in Loop: Header=BB3_130 Depth=1
	v_bfe_u32 v152, v132, 24, 3
	v_lshrrev_b32_e32 v156, 27, v132
	v_bfe_u32 v132, v132, 27, 4
	s_delay_alu instid0(VALU_DEP_3) | instskip(NEXT) | instid1(VALU_DEP_1)
	v_clz_i32_u32_e32 v154, v152
	v_min_u32_e32 v154, 32, v154
	s_delay_alu instid0(VALU_DEP_1) | instskip(SKIP_1) | instid1(VALU_DEP_2)
	v_subrev_nc_u32_e32 v155, 28, v154
	v_sub_nc_u32_e32 v154, 29, v154
	v_lshlrev_b32_e32 v131, v155, v131
	v_and_b32_e32 v155, 15, v156
	s_delay_alu instid0(VALU_DEP_1) | instskip(NEXT) | instid1(VALU_DEP_3)
	v_cmp_eq_u16_e64 vcc_lo, 0, v155
	v_dual_cndmask_b32 v132, v132, v154 :: v_dual_and_b32 v131, 7, v131
	s_delay_alu instid0(VALU_DEP_1) | instskip(NEXT) | instid1(VALU_DEP_2)
	v_lshl_add_u32 v132, v132, 10, 0x1c00
	v_dual_cndmask_b32 v131, v152, v131 :: v_dual_and_b32 v152, 0x8000, v153
	s_delay_alu instid0(VALU_DEP_1) | instskip(NEXT) | instid1(VALU_DEP_1)
	v_lshlrev_b32_e32 v131, 7, v131
	v_or3_b32 v152, v152, v132, v131
.LBB3_162:                              ;   in Loop: Header=BB3_130 Depth=1
	s_or_b32 exec_lo, exec_lo, s14
	v_add_nc_u32_e32 v131, v133, v138
	s_mov_b32 s7, 0
	s_mov_b32 s15, exec_lo
                                        ; implicit-def: $sgpr14
	buffer_load_b64 v[131:132], v131, s[8:11], 0 offen
	s_waitcnt vmcnt(0)
	v_and_b32_e32 v154, 0xff, v131
	s_delay_alu instid0(VALU_DEP_1)
	v_cmpx_lt_i16_e64 0x7f, v154
	s_xor_b32 s15, exec_lo, s15
	s_cbranch_execnz .LBB3_289
; %bb.163:                              ;   in Loop: Header=BB3_130 Depth=1
	s_or_saveexec_b32 s15, s15
	v_mov_b32_e32 v153, s14
	s_xor_b32 exec_lo, exec_lo, s15
	s_cbranch_execnz .LBB3_292
.LBB3_164:                              ;   in Loop: Header=BB3_130 Depth=1
	s_or_b32 exec_lo, exec_lo, s15
	s_and_saveexec_b32 s14, s7
	s_cbranch_execz .LBB3_166
.LBB3_165:                              ;   in Loop: Header=BB3_130 Depth=1
	v_lshrrev_b16 v155, 3, v131
	s_delay_alu instid0(VALU_DEP_1) | instskip(NEXT) | instid1(VALU_DEP_1)
	v_and_b32_e32 v155, 15, v155
	v_and_b32_e32 v157, 0xffff, v155
	v_cmp_eq_u16_e64 vcc_lo, 0, v155
	v_and_b32_e32 v153, 7, v131
	v_lshlrev_b32_e32 v155, 8, v131
	s_delay_alu instid0(VALU_DEP_2) | instskip(NEXT) | instid1(VALU_DEP_2)
	v_clz_i32_u32_e32 v154, v153
	v_and_b32_e32 v155, 0x8000, v155
	s_delay_alu instid0(VALU_DEP_2) | instskip(NEXT) | instid1(VALU_DEP_1)
	v_min_u32_e32 v154, 32, v154
	v_subrev_nc_u32_e32 v156, 28, v154
	v_sub_nc_u32_e32 v154, 29, v154
	s_delay_alu instid0(VALU_DEP_2) | instskip(NEXT) | instid1(VALU_DEP_2)
	v_lshlrev_b32_e32 v156, v156, v131
	v_cndmask_b32_e32 v154, v157, v154, vcc_lo
	s_delay_alu instid0(VALU_DEP_2) | instskip(NEXT) | instid1(VALU_DEP_2)
	v_and_b32_e32 v156, 7, v156
	v_lshl_add_u32 v154, v154, 10, 0x1c00
	s_delay_alu instid0(VALU_DEP_2) | instskip(NEXT) | instid1(VALU_DEP_1)
	v_cndmask_b32_e32 v153, v153, v156, vcc_lo
	v_lshlrev_b32_e32 v153, 7, v153
	s_delay_alu instid0(VALU_DEP_1)
	v_or3_b32 v153, v155, v154, v153
.LBB3_166:                              ;   in Loop: Header=BB3_130 Depth=1
	s_or_b32 exec_lo, exec_lo, s14
	v_lshrrev_b32_e32 v156, 8, v131
	s_mov_b32 s7, 0
	s_mov_b32 s15, exec_lo
                                        ; implicit-def: $sgpr14
	s_delay_alu instid0(VALU_DEP_1) | instskip(NEXT) | instid1(VALU_DEP_1)
	v_and_b32_e32 v155, 0xff, v156
	v_cmpx_lt_i16_e64 0x7f, v155
	s_xor_b32 s15, exec_lo, s15
	s_cbranch_execnz .LBB3_293
; %bb.167:                              ;   in Loop: Header=BB3_130 Depth=1
	s_or_saveexec_b32 s15, s15
	v_mov_b32_e32 v154, s14
	s_xor_b32 exec_lo, exec_lo, s15
	s_cbranch_execnz .LBB3_296
.LBB3_168:                              ;   in Loop: Header=BB3_130 Depth=1
	s_or_b32 exec_lo, exec_lo, s15
	s_and_saveexec_b32 s14, s7
	s_cbranch_execz .LBB3_170
.LBB3_169:                              ;   in Loop: Header=BB3_130 Depth=1
	v_bfe_u32 v154, v131, 8, 3
	v_lshrrev_b16 v157, 3, v156
	s_delay_alu instid0(VALU_DEP_2) | instskip(NEXT) | instid1(VALU_DEP_1)
	v_clz_i32_u32_e32 v155, v154
	v_min_u32_e32 v155, 32, v155
	s_delay_alu instid0(VALU_DEP_1) | instskip(SKIP_1) | instid1(VALU_DEP_2)
	v_subrev_nc_u32_e32 v158, 28, v155
	v_sub_nc_u32_e32 v155, 29, v155
	v_lshlrev_b32_e32 v158, v158, v156
	s_delay_alu instid0(VALU_DEP_1) | instskip(SKIP_1) | instid1(VALU_DEP_1)
	v_and_b32_e32 v158, 7, v158
	v_and_b32_e32 v157, 15, v157
	v_cmp_eq_u16_e64 vcc_lo, 0, v157
	s_delay_alu instid0(VALU_DEP_3) | instskip(SKIP_1) | instid1(VALU_DEP_2)
	v_dual_cndmask_b32 v154, v154, v158 :: v_dual_and_b32 v159, 0xffff, v157
	v_and_b32_e32 v157, 0x8000, v131
	v_dual_cndmask_b32 v155, v159, v155 :: v_dual_lshlrev_b32 v154, 7, v154
	s_delay_alu instid0(VALU_DEP_1) | instskip(NEXT) | instid1(VALU_DEP_1)
	v_lshl_add_u32 v155, v155, 10, 0x1c00
	v_or3_b32 v154, v157, v155, v154
.LBB3_170:                              ;   in Loop: Header=BB3_130 Depth=1
	s_or_b32 exec_lo, exec_lo, s14
	v_lshrrev_b32_e32 v157, 16, v131
	s_mov_b32 s7, 0
	s_mov_b32 s15, exec_lo
                                        ; implicit-def: $sgpr14
	s_delay_alu instid0(VALU_DEP_1) | instskip(NEXT) | instid1(VALU_DEP_1)
	v_and_b32_e32 v158, 0xff, v157
	v_cmpx_lt_i16_e64 0x7f, v158
	s_xor_b32 s15, exec_lo, s15
	s_cbranch_execnz .LBB3_297
; %bb.171:                              ;   in Loop: Header=BB3_130 Depth=1
	s_or_saveexec_b32 s15, s15
	v_mov_b32_e32 v155, s14
	s_xor_b32 exec_lo, exec_lo, s15
	s_cbranch_execnz .LBB3_300
.LBB3_172:                              ;   in Loop: Header=BB3_130 Depth=1
	s_or_b32 exec_lo, exec_lo, s15
	s_and_saveexec_b32 s14, s7
	s_cbranch_execz .LBB3_174
.LBB3_173:                              ;   in Loop: Header=BB3_130 Depth=1
	v_bfe_u32 v155, v131, 16, 3
	v_lshrrev_b32_e32 v160, 19, v131
	v_bfe_u32 v161, v131, 19, 4
	v_and_b32_e32 v156, 0x8000, v156
	s_delay_alu instid0(VALU_DEP_4) | instskip(NEXT) | instid1(VALU_DEP_4)
	v_clz_i32_u32_e32 v158, v155
	v_and_b32_e32 v160, 15, v160
	s_delay_alu instid0(VALU_DEP_2) | instskip(NEXT) | instid1(VALU_DEP_2)
	v_min_u32_e32 v158, 32, v158
	v_cmp_eq_u16_e64 vcc_lo, 0, v160
	s_delay_alu instid0(VALU_DEP_2) | instskip(SKIP_1) | instid1(VALU_DEP_1)
	v_subrev_nc_u32_e32 v159, 28, v158
	v_sub_nc_u32_e32 v158, 29, v158
	v_dual_cndmask_b32 v158, v161, v158 :: v_dual_lshlrev_b32 v159, v159, v157
	s_delay_alu instid0(VALU_DEP_1) | instskip(NEXT) | instid1(VALU_DEP_2)
	v_and_b32_e32 v159, 7, v159
	v_lshl_add_u32 v158, v158, 10, 0x1c00
	s_delay_alu instid0(VALU_DEP_2) | instskip(NEXT) | instid1(VALU_DEP_1)
	v_cndmask_b32_e32 v155, v155, v159, vcc_lo
	v_lshlrev_b32_e32 v155, 7, v155
	s_delay_alu instid0(VALU_DEP_1)
	v_or3_b32 v155, v156, v158, v155
.LBB3_174:                              ;   in Loop: Header=BB3_130 Depth=1
	s_or_b32 exec_lo, exec_lo, s14
	v_lshrrev_b32_e32 v158, 24, v131
	s_mov_b32 s7, 0
	s_mov_b32 s15, exec_lo
                                        ; implicit-def: $sgpr14
	s_delay_alu instid0(VALU_DEP_1)
	v_cmpx_lt_i16_e64 0x7f, v158
	s_xor_b32 s15, exec_lo, s15
	s_cbranch_execnz .LBB3_301
; %bb.175:                              ;   in Loop: Header=BB3_130 Depth=1
	s_or_saveexec_b32 s15, s15
	v_mov_b32_e32 v156, s14
	s_xor_b32 exec_lo, exec_lo, s15
	s_cbranch_execnz .LBB3_304
.LBB3_176:                              ;   in Loop: Header=BB3_130 Depth=1
	s_or_b32 exec_lo, exec_lo, s15
	s_and_saveexec_b32 s14, s7
	s_cbranch_execz .LBB3_178
.LBB3_177:                              ;   in Loop: Header=BB3_130 Depth=1
	v_bfe_u32 v156, v131, 24, 3
	v_lshrrev_b32_e32 v161, 27, v131
	v_bfe_u32 v131, v131, 27, 4
	v_and_b32_e32 v157, 0x8000, v157
	s_delay_alu instid0(VALU_DEP_4) | instskip(NEXT) | instid1(VALU_DEP_1)
	v_clz_i32_u32_e32 v159, v156
	v_min_u32_e32 v159, 32, v159
	s_delay_alu instid0(VALU_DEP_1) | instskip(SKIP_1) | instid1(VALU_DEP_2)
	v_subrev_nc_u32_e32 v160, 28, v159
	v_sub_nc_u32_e32 v159, 29, v159
	v_lshlrev_b32_e32 v158, v160, v158
	v_and_b32_e32 v160, 15, v161
	s_delay_alu instid0(VALU_DEP_1) | instskip(NEXT) | instid1(VALU_DEP_3)
	v_cmp_eq_u16_e64 vcc_lo, 0, v160
	v_dual_cndmask_b32 v131, v131, v159 :: v_dual_and_b32 v158, 7, v158
	s_delay_alu instid0(VALU_DEP_1) | instskip(NEXT) | instid1(VALU_DEP_2)
	v_lshl_add_u32 v131, v131, 10, 0x1c00
	v_cndmask_b32_e32 v156, v156, v158, vcc_lo
	s_delay_alu instid0(VALU_DEP_1) | instskip(NEXT) | instid1(VALU_DEP_1)
	v_lshlrev_b32_e32 v156, 7, v156
	v_or3_b32 v156, v157, v131, v156
.LBB3_178:                              ;   in Loop: Header=BB3_130 Depth=1
	s_or_b32 exec_lo, exec_lo, s14
	v_and_b32_e32 v131, 0xff, v132
	s_mov_b32 s7, 0
	s_mov_b32 s15, exec_lo
                                        ; implicit-def: $sgpr14
	s_delay_alu instid0(VALU_DEP_1)
	v_cmpx_lt_i16_e64 0x7f, v131
	s_xor_b32 s15, exec_lo, s15
	s_cbranch_execnz .LBB3_305
; %bb.179:                              ;   in Loop: Header=BB3_130 Depth=1
	s_or_saveexec_b32 s15, s15
	v_mov_b32_e32 v157, s14
	s_xor_b32 exec_lo, exec_lo, s15
	s_cbranch_execnz .LBB3_308
.LBB3_180:                              ;   in Loop: Header=BB3_130 Depth=1
	s_or_b32 exec_lo, exec_lo, s15
	s_and_saveexec_b32 s14, s7
	s_cbranch_execz .LBB3_182
.LBB3_181:                              ;   in Loop: Header=BB3_130 Depth=1
	v_and_b32_e32 v131, 7, v132
	v_lshrrev_b16 v158, 3, v132
	s_delay_alu instid0(VALU_DEP_2) | instskip(NEXT) | instid1(VALU_DEP_1)
	v_clz_i32_u32_e32 v157, v131
	v_min_u32_e32 v157, 32, v157
	s_delay_alu instid0(VALU_DEP_1) | instskip(SKIP_1) | instid1(VALU_DEP_2)
	v_subrev_nc_u32_e32 v159, 28, v157
	v_sub_nc_u32_e32 v157, 29, v157
	v_lshlrev_b32_e32 v159, v159, v132
	s_delay_alu instid0(VALU_DEP_1) | instskip(SKIP_1) | instid1(VALU_DEP_1)
	v_and_b32_e32 v159, 7, v159
	v_and_b32_e32 v158, 15, v158
	v_cmp_eq_u16_e64 vcc_lo, 0, v158
	s_delay_alu instid0(VALU_DEP_3) | instskip(SKIP_1) | instid1(VALU_DEP_2)
	v_dual_cndmask_b32 v131, v131, v159 :: v_dual_and_b32 v160, 0xffff, v158
	v_lshlrev_b32_e32 v158, 8, v132
	v_lshlrev_b32_e32 v131, 7, v131
	s_delay_alu instid0(VALU_DEP_2) | instskip(NEXT) | instid1(VALU_DEP_1)
	v_dual_cndmask_b32 v157, v160, v157 :: v_dual_and_b32 v158, 0x8000, v158
	v_lshl_add_u32 v157, v157, 10, 0x1c00
	s_delay_alu instid0(VALU_DEP_1)
	v_or3_b32 v157, v158, v157, v131
.LBB3_182:                              ;   in Loop: Header=BB3_130 Depth=1
	s_or_b32 exec_lo, exec_lo, s14
	v_lshrrev_b32_e32 v131, 8, v132
	s_mov_b32 s7, 0
	s_mov_b32 s15, exec_lo
                                        ; implicit-def: $sgpr14
	s_delay_alu instid0(VALU_DEP_1) | instskip(NEXT) | instid1(VALU_DEP_1)
	v_and_b32_e32 v159, 0xff, v131
	v_cmpx_lt_i16_e64 0x7f, v159
	s_xor_b32 s15, exec_lo, s15
	s_cbranch_execnz .LBB3_309
; %bb.183:                              ;   in Loop: Header=BB3_130 Depth=1
	s_or_saveexec_b32 s15, s15
	v_mov_b32_e32 v158, s14
	s_xor_b32 exec_lo, exec_lo, s15
	s_cbranch_execnz .LBB3_312
.LBB3_184:                              ;   in Loop: Header=BB3_130 Depth=1
	s_or_b32 exec_lo, exec_lo, s15
	s_and_saveexec_b32 s14, s7
	s_cbranch_execz .LBB3_186
.LBB3_185:                              ;   in Loop: Header=BB3_130 Depth=1
	v_bfe_u32 v158, v132, 8, 3
	v_lshrrev_b16 v160, 3, v131
	s_delay_alu instid0(VALU_DEP_2) | instskip(NEXT) | instid1(VALU_DEP_1)
	v_clz_i32_u32_e32 v159, v158
	v_min_u32_e32 v159, 32, v159
	s_delay_alu instid0(VALU_DEP_1) | instskip(SKIP_2) | instid1(VALU_DEP_3)
	v_subrev_nc_u32_e32 v161, 28, v159
	v_sub_nc_u32_e32 v159, 29, v159
	v_and_b32_e32 v160, 15, v160
	v_lshlrev_b32_e32 v161, v161, v131
	s_delay_alu instid0(VALU_DEP_2) | instskip(SKIP_2) | instid1(VALU_DEP_4)
	v_and_b32_e32 v162, 0xffff, v160
	v_cmp_eq_u16_e64 vcc_lo, 0, v160
	v_and_b32_e32 v160, 0x8000, v132
	v_and_b32_e32 v161, 7, v161
	s_delay_alu instid0(VALU_DEP_4) | instskip(NEXT) | instid1(VALU_DEP_2)
	v_cndmask_b32_e32 v159, v162, v159, vcc_lo
	v_cndmask_b32_e32 v158, v158, v161, vcc_lo
	s_delay_alu instid0(VALU_DEP_2) | instskip(NEXT) | instid1(VALU_DEP_2)
	v_lshl_add_u32 v159, v159, 10, 0x1c00
	v_lshlrev_b32_e32 v158, 7, v158
	s_delay_alu instid0(VALU_DEP_1)
	v_or3_b32 v158, v160, v159, v158
.LBB3_186:                              ;   in Loop: Header=BB3_130 Depth=1
	s_or_b32 exec_lo, exec_lo, s14
	v_lshrrev_b32_e32 v161, 16, v132
	s_mov_b32 s7, 0
	s_mov_b32 s15, exec_lo
                                        ; implicit-def: $sgpr14
	s_delay_alu instid0(VALU_DEP_1) | instskip(NEXT) | instid1(VALU_DEP_1)
	v_and_b32_e32 v160, 0xff, v161
	v_cmpx_lt_i16_e64 0x7f, v160
	s_xor_b32 s15, exec_lo, s15
	s_cbranch_execnz .LBB3_313
; %bb.187:                              ;   in Loop: Header=BB3_130 Depth=1
	s_or_saveexec_b32 s15, s15
	v_mov_b32_e32 v159, s14
	s_xor_b32 exec_lo, exec_lo, s15
	s_cbranch_execnz .LBB3_316
.LBB3_188:                              ;   in Loop: Header=BB3_130 Depth=1
	s_or_b32 exec_lo, exec_lo, s15
	s_and_saveexec_b32 s14, s7
	s_cbranch_execz .LBB3_190
.LBB3_189:                              ;   in Loop: Header=BB3_130 Depth=1
	v_bfe_u32 v159, v132, 16, 3
	v_lshrrev_b32_e32 v163, 19, v132
	v_bfe_u32 v164, v132, 19, 4
	v_and_b32_e32 v131, 0x8000, v131
	s_delay_alu instid0(VALU_DEP_4) | instskip(NEXT) | instid1(VALU_DEP_1)
	v_clz_i32_u32_e32 v160, v159
	v_min_u32_e32 v160, 32, v160
	s_delay_alu instid0(VALU_DEP_1) | instskip(SKIP_2) | instid1(VALU_DEP_3)
	v_subrev_nc_u32_e32 v162, 28, v160
	v_sub_nc_u32_e32 v160, 29, v160
	v_and_b32_e32 v163, 15, v163
	v_lshlrev_b32_e32 v162, v162, v161
	s_delay_alu instid0(VALU_DEP_2) | instskip(NEXT) | instid1(VALU_DEP_2)
	v_cmp_eq_u16_e64 vcc_lo, 0, v163
	v_and_b32_e32 v162, 7, v162
	s_delay_alu instid0(VALU_DEP_1) | instskip(NEXT) | instid1(VALU_DEP_1)
	v_dual_cndmask_b32 v160, v164, v160 :: v_dual_cndmask_b32 v159, v159, v162
	v_lshl_add_u32 v160, v160, 10, 0x1c00
	s_delay_alu instid0(VALU_DEP_2) | instskip(NEXT) | instid1(VALU_DEP_1)
	v_lshlrev_b32_e32 v159, 7, v159
	v_or3_b32 v159, v131, v160, v159
.LBB3_190:                              ;   in Loop: Header=BB3_130 Depth=1
	s_or_b32 exec_lo, exec_lo, s14
	v_lshrrev_b32_e32 v131, 24, v132
	s_mov_b32 s7, 0
	s_mov_b32 s15, exec_lo
                                        ; implicit-def: $sgpr14
	s_delay_alu instid0(VALU_DEP_1)
	v_cmpx_lt_i16_e64 0x7f, v131
	s_xor_b32 s15, exec_lo, s15
	s_cbranch_execnz .LBB3_317
; %bb.191:                              ;   in Loop: Header=BB3_130 Depth=1
	s_or_saveexec_b32 s15, s15
	v_mov_b32_e32 v160, s14
	s_xor_b32 exec_lo, exec_lo, s15
	s_cbranch_execnz .LBB3_320
.LBB3_192:                              ;   in Loop: Header=BB3_130 Depth=1
	s_or_b32 exec_lo, exec_lo, s15
	s_and_saveexec_b32 s14, s7
	s_cbranch_execz .LBB3_194
.LBB3_193:                              ;   in Loop: Header=BB3_130 Depth=1
	v_bfe_u32 v160, v132, 24, 3
	v_lshrrev_b32_e32 v164, 27, v132
	v_bfe_u32 v132, v132, 27, 4
	s_delay_alu instid0(VALU_DEP_3) | instskip(NEXT) | instid1(VALU_DEP_1)
	v_clz_i32_u32_e32 v162, v160
	v_min_u32_e32 v162, 32, v162
	s_delay_alu instid0(VALU_DEP_1) | instskip(SKIP_1) | instid1(VALU_DEP_2)
	v_subrev_nc_u32_e32 v163, 28, v162
	v_sub_nc_u32_e32 v162, 29, v162
	v_lshlrev_b32_e32 v131, v163, v131
	v_and_b32_e32 v163, 15, v164
	s_delay_alu instid0(VALU_DEP_1) | instskip(NEXT) | instid1(VALU_DEP_3)
	v_cmp_eq_u16_e64 vcc_lo, 0, v163
	v_dual_cndmask_b32 v132, v132, v162 :: v_dual_and_b32 v131, 7, v131
	s_delay_alu instid0(VALU_DEP_1) | instskip(NEXT) | instid1(VALU_DEP_2)
	v_lshl_add_u32 v132, v132, 10, 0x1c00
	v_dual_cndmask_b32 v131, v160, v131 :: v_dual_and_b32 v160, 0x8000, v161
	s_delay_alu instid0(VALU_DEP_1) | instskip(NEXT) | instid1(VALU_DEP_1)
	v_lshlrev_b32_e32 v131, 7, v131
	v_or3_b32 v160, v160, v132, v131
.LBB3_194:                              ;   in Loop: Header=BB3_130 Depth=1
	s_or_b32 exec_lo, exec_lo, s14
	v_add_nc_u32_e32 v131, v133, v130
	s_mov_b32 s7, 0
	s_mov_b32 s15, exec_lo
                                        ; implicit-def: $sgpr14
	buffer_load_b64 v[131:132], v131, s[8:11], 0 offen
	s_waitcnt vmcnt(0)
	v_and_b32_e32 v162, 0xff, v131
	s_delay_alu instid0(VALU_DEP_1)
	v_cmpx_lt_i16_e64 0x7f, v162
	s_xor_b32 s15, exec_lo, s15
	s_cbranch_execnz .LBB3_321
; %bb.195:                              ;   in Loop: Header=BB3_130 Depth=1
	s_or_saveexec_b32 s15, s15
	v_mov_b32_e32 v161, s14
	s_xor_b32 exec_lo, exec_lo, s15
	s_cbranch_execnz .LBB3_324
.LBB3_196:                              ;   in Loop: Header=BB3_130 Depth=1
	s_or_b32 exec_lo, exec_lo, s15
	s_and_saveexec_b32 s14, s7
	s_cbranch_execz .LBB3_198
.LBB3_197:                              ;   in Loop: Header=BB3_130 Depth=1
	v_lshrrev_b16 v163, 3, v131
	s_delay_alu instid0(VALU_DEP_1) | instskip(NEXT) | instid1(VALU_DEP_1)
	v_and_b32_e32 v163, 15, v163
	v_and_b32_e32 v165, 0xffff, v163
	v_cmp_eq_u16_e64 vcc_lo, 0, v163
	v_and_b32_e32 v161, 7, v131
	v_lshlrev_b32_e32 v163, 8, v131
	s_delay_alu instid0(VALU_DEP_2) | instskip(NEXT) | instid1(VALU_DEP_2)
	v_clz_i32_u32_e32 v162, v161
	v_and_b32_e32 v163, 0x8000, v163
	s_delay_alu instid0(VALU_DEP_2) | instskip(NEXT) | instid1(VALU_DEP_1)
	v_min_u32_e32 v162, 32, v162
	v_subrev_nc_u32_e32 v164, 28, v162
	v_sub_nc_u32_e32 v162, 29, v162
	s_delay_alu instid0(VALU_DEP_2) | instskip(NEXT) | instid1(VALU_DEP_2)
	v_lshlrev_b32_e32 v164, v164, v131
	v_cndmask_b32_e32 v162, v165, v162, vcc_lo
	s_delay_alu instid0(VALU_DEP_2) | instskip(NEXT) | instid1(VALU_DEP_2)
	v_and_b32_e32 v164, 7, v164
	v_lshl_add_u32 v162, v162, 10, 0x1c00
	s_delay_alu instid0(VALU_DEP_2) | instskip(NEXT) | instid1(VALU_DEP_1)
	v_cndmask_b32_e32 v161, v161, v164, vcc_lo
	v_lshlrev_b32_e32 v161, 7, v161
	s_delay_alu instid0(VALU_DEP_1)
	v_or3_b32 v161, v163, v162, v161
.LBB3_198:                              ;   in Loop: Header=BB3_130 Depth=1
	s_or_b32 exec_lo, exec_lo, s14
	v_lshrrev_b32_e32 v164, 8, v131
	s_mov_b32 s7, 0
	s_mov_b32 s15, exec_lo
                                        ; implicit-def: $sgpr14
	s_delay_alu instid0(VALU_DEP_1) | instskip(NEXT) | instid1(VALU_DEP_1)
	v_and_b32_e32 v163, 0xff, v164
	v_cmpx_lt_i16_e64 0x7f, v163
	s_xor_b32 s15, exec_lo, s15
	s_cbranch_execnz .LBB3_325
; %bb.199:                              ;   in Loop: Header=BB3_130 Depth=1
	s_or_saveexec_b32 s15, s15
	v_mov_b32_e32 v162, s14
	s_xor_b32 exec_lo, exec_lo, s15
	s_cbranch_execnz .LBB3_328
.LBB3_200:                              ;   in Loop: Header=BB3_130 Depth=1
	s_or_b32 exec_lo, exec_lo, s15
	s_and_saveexec_b32 s14, s7
	s_cbranch_execz .LBB3_202
.LBB3_201:                              ;   in Loop: Header=BB3_130 Depth=1
	v_bfe_u32 v162, v131, 8, 3
	v_lshrrev_b16 v165, 3, v164
	s_delay_alu instid0(VALU_DEP_2) | instskip(NEXT) | instid1(VALU_DEP_1)
	v_clz_i32_u32_e32 v163, v162
	v_min_u32_e32 v163, 32, v163
	s_delay_alu instid0(VALU_DEP_1) | instskip(SKIP_1) | instid1(VALU_DEP_2)
	v_subrev_nc_u32_e32 v166, 28, v163
	v_sub_nc_u32_e32 v163, 29, v163
	v_lshlrev_b32_e32 v166, v166, v164
	s_delay_alu instid0(VALU_DEP_1) | instskip(SKIP_1) | instid1(VALU_DEP_1)
	v_and_b32_e32 v166, 7, v166
	v_and_b32_e32 v165, 15, v165
	v_cmp_eq_u16_e64 vcc_lo, 0, v165
	s_delay_alu instid0(VALU_DEP_3) | instskip(SKIP_1) | instid1(VALU_DEP_2)
	v_dual_cndmask_b32 v162, v162, v166 :: v_dual_and_b32 v167, 0xffff, v165
	v_and_b32_e32 v165, 0x8000, v131
	v_dual_cndmask_b32 v163, v167, v163 :: v_dual_lshlrev_b32 v162, 7, v162
	s_delay_alu instid0(VALU_DEP_1) | instskip(NEXT) | instid1(VALU_DEP_1)
	v_lshl_add_u32 v163, v163, 10, 0x1c00
	v_or3_b32 v162, v165, v163, v162
.LBB3_202:                              ;   in Loop: Header=BB3_130 Depth=1
	s_or_b32 exec_lo, exec_lo, s14
	v_lshrrev_b32_e32 v165, 16, v131
	s_mov_b32 s7, 0
	s_mov_b32 s15, exec_lo
                                        ; implicit-def: $sgpr14
	s_delay_alu instid0(VALU_DEP_1) | instskip(NEXT) | instid1(VALU_DEP_1)
	v_and_b32_e32 v166, 0xff, v165
	v_cmpx_lt_i16_e64 0x7f, v166
	s_xor_b32 s15, exec_lo, s15
	s_cbranch_execnz .LBB3_329
; %bb.203:                              ;   in Loop: Header=BB3_130 Depth=1
	s_or_saveexec_b32 s15, s15
	v_mov_b32_e32 v163, s14
	s_xor_b32 exec_lo, exec_lo, s15
	s_cbranch_execnz .LBB3_332
.LBB3_204:                              ;   in Loop: Header=BB3_130 Depth=1
	s_or_b32 exec_lo, exec_lo, s15
	s_and_saveexec_b32 s14, s7
	s_cbranch_execz .LBB3_206
.LBB3_205:                              ;   in Loop: Header=BB3_130 Depth=1
	v_bfe_u32 v163, v131, 16, 3
	v_lshrrev_b32_e32 v168, 19, v131
	v_bfe_u32 v169, v131, 19, 4
	v_and_b32_e32 v164, 0x8000, v164
	s_delay_alu instid0(VALU_DEP_4) | instskip(NEXT) | instid1(VALU_DEP_4)
	v_clz_i32_u32_e32 v166, v163
	v_and_b32_e32 v168, 15, v168
	s_delay_alu instid0(VALU_DEP_2) | instskip(NEXT) | instid1(VALU_DEP_2)
	v_min_u32_e32 v166, 32, v166
	v_cmp_eq_u16_e64 vcc_lo, 0, v168
	s_delay_alu instid0(VALU_DEP_2) | instskip(SKIP_1) | instid1(VALU_DEP_1)
	v_subrev_nc_u32_e32 v167, 28, v166
	v_sub_nc_u32_e32 v166, 29, v166
	v_dual_cndmask_b32 v166, v169, v166 :: v_dual_lshlrev_b32 v167, v167, v165
	s_delay_alu instid0(VALU_DEP_1) | instskip(NEXT) | instid1(VALU_DEP_2)
	v_and_b32_e32 v167, 7, v167
	v_lshl_add_u32 v166, v166, 10, 0x1c00
	s_delay_alu instid0(VALU_DEP_2) | instskip(NEXT) | instid1(VALU_DEP_1)
	v_cndmask_b32_e32 v163, v163, v167, vcc_lo
	v_lshlrev_b32_e32 v163, 7, v163
	s_delay_alu instid0(VALU_DEP_1)
	v_or3_b32 v163, v164, v166, v163
.LBB3_206:                              ;   in Loop: Header=BB3_130 Depth=1
	s_or_b32 exec_lo, exec_lo, s14
	v_lshrrev_b32_e32 v166, 24, v131
	s_mov_b32 s7, 0
	s_mov_b32 s15, exec_lo
                                        ; implicit-def: $sgpr14
	s_delay_alu instid0(VALU_DEP_1)
	v_cmpx_lt_i16_e64 0x7f, v166
	s_xor_b32 s15, exec_lo, s15
	s_cbranch_execnz .LBB3_333
; %bb.207:                              ;   in Loop: Header=BB3_130 Depth=1
	s_or_saveexec_b32 s15, s15
	v_mov_b32_e32 v164, s14
	s_xor_b32 exec_lo, exec_lo, s15
	s_cbranch_execnz .LBB3_336
.LBB3_208:                              ;   in Loop: Header=BB3_130 Depth=1
	s_or_b32 exec_lo, exec_lo, s15
	s_and_saveexec_b32 s14, s7
	s_cbranch_execz .LBB3_210
.LBB3_209:                              ;   in Loop: Header=BB3_130 Depth=1
	v_bfe_u32 v164, v131, 24, 3
	v_lshrrev_b32_e32 v169, 27, v131
	v_bfe_u32 v131, v131, 27, 4
	v_and_b32_e32 v165, 0x8000, v165
	s_delay_alu instid0(VALU_DEP_4) | instskip(NEXT) | instid1(VALU_DEP_1)
	v_clz_i32_u32_e32 v167, v164
	v_min_u32_e32 v167, 32, v167
	s_delay_alu instid0(VALU_DEP_1) | instskip(SKIP_1) | instid1(VALU_DEP_2)
	v_subrev_nc_u32_e32 v168, 28, v167
	v_sub_nc_u32_e32 v167, 29, v167
	v_lshlrev_b32_e32 v166, v168, v166
	v_and_b32_e32 v168, 15, v169
	s_delay_alu instid0(VALU_DEP_1) | instskip(NEXT) | instid1(VALU_DEP_3)
	v_cmp_eq_u16_e64 vcc_lo, 0, v168
	v_dual_cndmask_b32 v131, v131, v167 :: v_dual_and_b32 v166, 7, v166
	s_delay_alu instid0(VALU_DEP_1) | instskip(NEXT) | instid1(VALU_DEP_2)
	v_lshl_add_u32 v131, v131, 10, 0x1c00
	v_cndmask_b32_e32 v164, v164, v166, vcc_lo
	s_delay_alu instid0(VALU_DEP_1) | instskip(NEXT) | instid1(VALU_DEP_1)
	v_lshlrev_b32_e32 v164, 7, v164
	v_or3_b32 v164, v165, v131, v164
.LBB3_210:                              ;   in Loop: Header=BB3_130 Depth=1
	s_or_b32 exec_lo, exec_lo, s14
	v_and_b32_e32 v131, 0xff, v132
	s_mov_b32 s7, 0
	s_mov_b32 s15, exec_lo
                                        ; implicit-def: $sgpr14
	s_delay_alu instid0(VALU_DEP_1)
	v_cmpx_lt_i16_e64 0x7f, v131
	s_xor_b32 s15, exec_lo, s15
	s_cbranch_execnz .LBB3_337
; %bb.211:                              ;   in Loop: Header=BB3_130 Depth=1
	s_or_saveexec_b32 s15, s15
	v_mov_b32_e32 v165, s14
	s_xor_b32 exec_lo, exec_lo, s15
	s_cbranch_execnz .LBB3_340
.LBB3_212:                              ;   in Loop: Header=BB3_130 Depth=1
	s_or_b32 exec_lo, exec_lo, s15
	s_and_saveexec_b32 s14, s7
	s_cbranch_execz .LBB3_214
.LBB3_213:                              ;   in Loop: Header=BB3_130 Depth=1
	v_and_b32_e32 v131, 7, v132
	v_lshrrev_b16 v166, 3, v132
	s_delay_alu instid0(VALU_DEP_2) | instskip(NEXT) | instid1(VALU_DEP_1)
	v_clz_i32_u32_e32 v165, v131
	v_min_u32_e32 v165, 32, v165
	s_delay_alu instid0(VALU_DEP_1) | instskip(SKIP_1) | instid1(VALU_DEP_2)
	v_subrev_nc_u32_e32 v167, 28, v165
	v_sub_nc_u32_e32 v165, 29, v165
	v_lshlrev_b32_e32 v167, v167, v132
	s_delay_alu instid0(VALU_DEP_1) | instskip(SKIP_1) | instid1(VALU_DEP_1)
	v_and_b32_e32 v167, 7, v167
	v_and_b32_e32 v166, 15, v166
	v_cmp_eq_u16_e64 vcc_lo, 0, v166
	s_delay_alu instid0(VALU_DEP_3) | instskip(SKIP_1) | instid1(VALU_DEP_2)
	v_dual_cndmask_b32 v131, v131, v167 :: v_dual_and_b32 v168, 0xffff, v166
	v_lshlrev_b32_e32 v166, 8, v132
	v_lshlrev_b32_e32 v131, 7, v131
	s_delay_alu instid0(VALU_DEP_2) | instskip(NEXT) | instid1(VALU_DEP_1)
	v_dual_cndmask_b32 v165, v168, v165 :: v_dual_and_b32 v166, 0x8000, v166
	v_lshl_add_u32 v165, v165, 10, 0x1c00
	s_delay_alu instid0(VALU_DEP_1)
	v_or3_b32 v165, v166, v165, v131
.LBB3_214:                              ;   in Loop: Header=BB3_130 Depth=1
	s_or_b32 exec_lo, exec_lo, s14
	v_lshrrev_b32_e32 v131, 8, v132
	s_mov_b32 s7, 0
	s_mov_b32 s15, exec_lo
                                        ; implicit-def: $sgpr14
	s_delay_alu instid0(VALU_DEP_1) | instskip(NEXT) | instid1(VALU_DEP_1)
	v_and_b32_e32 v167, 0xff, v131
	v_cmpx_lt_i16_e64 0x7f, v167
	s_xor_b32 s15, exec_lo, s15
	s_cbranch_execnz .LBB3_341
; %bb.215:                              ;   in Loop: Header=BB3_130 Depth=1
	s_or_saveexec_b32 s15, s15
	v_mov_b32_e32 v166, s14
	s_xor_b32 exec_lo, exec_lo, s15
	s_cbranch_execnz .LBB3_344
.LBB3_216:                              ;   in Loop: Header=BB3_130 Depth=1
	s_or_b32 exec_lo, exec_lo, s15
	s_and_saveexec_b32 s14, s7
	s_cbranch_execz .LBB3_218
.LBB3_217:                              ;   in Loop: Header=BB3_130 Depth=1
	v_bfe_u32 v166, v132, 8, 3
	v_lshrrev_b16 v168, 3, v131
	s_delay_alu instid0(VALU_DEP_2) | instskip(NEXT) | instid1(VALU_DEP_1)
	v_clz_i32_u32_e32 v167, v166
	v_min_u32_e32 v167, 32, v167
	s_delay_alu instid0(VALU_DEP_1) | instskip(SKIP_2) | instid1(VALU_DEP_3)
	v_subrev_nc_u32_e32 v169, 28, v167
	v_sub_nc_u32_e32 v167, 29, v167
	v_and_b32_e32 v168, 15, v168
	v_lshlrev_b32_e32 v169, v169, v131
	s_delay_alu instid0(VALU_DEP_2) | instskip(SKIP_2) | instid1(VALU_DEP_4)
	v_and_b32_e32 v170, 0xffff, v168
	v_cmp_eq_u16_e64 vcc_lo, 0, v168
	v_and_b32_e32 v168, 0x8000, v132
	v_and_b32_e32 v169, 7, v169
	s_delay_alu instid0(VALU_DEP_4) | instskip(NEXT) | instid1(VALU_DEP_2)
	v_cndmask_b32_e32 v167, v170, v167, vcc_lo
	v_cndmask_b32_e32 v166, v166, v169, vcc_lo
	s_delay_alu instid0(VALU_DEP_2) | instskip(NEXT) | instid1(VALU_DEP_2)
	v_lshl_add_u32 v167, v167, 10, 0x1c00
	v_lshlrev_b32_e32 v166, 7, v166
	s_delay_alu instid0(VALU_DEP_1)
	v_or3_b32 v166, v168, v167, v166
.LBB3_218:                              ;   in Loop: Header=BB3_130 Depth=1
	s_or_b32 exec_lo, exec_lo, s14
	v_lshrrev_b32_e32 v169, 16, v132
	s_mov_b32 s7, 0
	s_mov_b32 s15, exec_lo
                                        ; implicit-def: $sgpr14
	s_delay_alu instid0(VALU_DEP_1) | instskip(NEXT) | instid1(VALU_DEP_1)
	v_and_b32_e32 v168, 0xff, v169
	v_cmpx_lt_i16_e64 0x7f, v168
	s_xor_b32 s15, exec_lo, s15
	s_cbranch_execnz .LBB3_345
; %bb.219:                              ;   in Loop: Header=BB3_130 Depth=1
	s_or_saveexec_b32 s15, s15
	v_mov_b32_e32 v167, s14
	s_xor_b32 exec_lo, exec_lo, s15
	s_cbranch_execnz .LBB3_348
.LBB3_220:                              ;   in Loop: Header=BB3_130 Depth=1
	s_or_b32 exec_lo, exec_lo, s15
	s_and_saveexec_b32 s14, s7
	s_cbranch_execz .LBB3_222
.LBB3_221:                              ;   in Loop: Header=BB3_130 Depth=1
	v_bfe_u32 v167, v132, 16, 3
	v_lshrrev_b32_e32 v171, 19, v132
	v_bfe_u32 v172, v132, 19, 4
	v_and_b32_e32 v131, 0x8000, v131
	s_delay_alu instid0(VALU_DEP_4) | instskip(NEXT) | instid1(VALU_DEP_1)
	v_clz_i32_u32_e32 v168, v167
	v_min_u32_e32 v168, 32, v168
	s_delay_alu instid0(VALU_DEP_1) | instskip(SKIP_2) | instid1(VALU_DEP_3)
	v_subrev_nc_u32_e32 v170, 28, v168
	v_sub_nc_u32_e32 v168, 29, v168
	v_and_b32_e32 v171, 15, v171
	v_lshlrev_b32_e32 v170, v170, v169
	s_delay_alu instid0(VALU_DEP_2) | instskip(NEXT) | instid1(VALU_DEP_2)
	v_cmp_eq_u16_e64 vcc_lo, 0, v171
	v_and_b32_e32 v170, 7, v170
	s_delay_alu instid0(VALU_DEP_1) | instskip(NEXT) | instid1(VALU_DEP_1)
	v_dual_cndmask_b32 v168, v172, v168 :: v_dual_cndmask_b32 v167, v167, v170
	v_lshl_add_u32 v168, v168, 10, 0x1c00
	s_delay_alu instid0(VALU_DEP_2) | instskip(NEXT) | instid1(VALU_DEP_1)
	v_lshlrev_b32_e32 v167, 7, v167
	v_or3_b32 v167, v131, v168, v167
.LBB3_222:                              ;   in Loop: Header=BB3_130 Depth=1
	s_or_b32 exec_lo, exec_lo, s14
	v_lshrrev_b32_e32 v131, 24, v132
	s_mov_b32 s7, 0
	s_mov_b32 s15, exec_lo
                                        ; implicit-def: $sgpr14
	s_delay_alu instid0(VALU_DEP_1)
	v_cmpx_lt_i16_e64 0x7f, v131
	s_xor_b32 s15, exec_lo, s15
	s_cbranch_execnz .LBB3_349
; %bb.223:                              ;   in Loop: Header=BB3_130 Depth=1
	s_or_saveexec_b32 s15, s15
	v_mov_b32_e32 v168, s14
	s_xor_b32 exec_lo, exec_lo, s15
	s_cbranch_execnz .LBB3_352
.LBB3_224:                              ;   in Loop: Header=BB3_130 Depth=1
	s_or_b32 exec_lo, exec_lo, s15
	s_and_saveexec_b32 s14, s7
	s_cbranch_execz .LBB3_226
.LBB3_225:                              ;   in Loop: Header=BB3_130 Depth=1
	v_bfe_u32 v168, v132, 24, 3
	v_lshrrev_b32_e32 v172, 27, v132
	v_bfe_u32 v132, v132, 27, 4
	s_delay_alu instid0(VALU_DEP_3) | instskip(NEXT) | instid1(VALU_DEP_1)
	v_clz_i32_u32_e32 v170, v168
	v_min_u32_e32 v170, 32, v170
	s_delay_alu instid0(VALU_DEP_1) | instskip(SKIP_1) | instid1(VALU_DEP_2)
	v_subrev_nc_u32_e32 v171, 28, v170
	v_sub_nc_u32_e32 v170, 29, v170
	v_lshlrev_b32_e32 v131, v171, v131
	v_and_b32_e32 v171, 15, v172
	s_delay_alu instid0(VALU_DEP_1) | instskip(NEXT) | instid1(VALU_DEP_3)
	v_cmp_eq_u16_e64 vcc_lo, 0, v171
	v_dual_cndmask_b32 v132, v132, v170 :: v_dual_and_b32 v131, 7, v131
	s_delay_alu instid0(VALU_DEP_1) | instskip(NEXT) | instid1(VALU_DEP_2)
	v_lshl_add_u32 v132, v132, 10, 0x1c00
	v_dual_cndmask_b32 v131, v168, v131 :: v_dual_and_b32 v168, 0x8000, v169
	s_delay_alu instid0(VALU_DEP_1) | instskip(NEXT) | instid1(VALU_DEP_1)
	v_lshlrev_b32_e32 v131, 7, v131
	v_or3_b32 v168, v168, v132, v131
.LBB3_226:                              ;   in Loop: Header=BB3_130 Depth=1
	s_or_b32 exec_lo, exec_lo, s14
	v_add_nc_u32_e32 v131, v133, v129
	s_mov_b32 s7, 0
	s_mov_b32 s15, exec_lo
                                        ; implicit-def: $sgpr14
	buffer_load_b64 v[131:132], v131, s[8:11], 0 offen
	s_waitcnt vmcnt(0)
	v_and_b32_e32 v170, 0xff, v131
	s_delay_alu instid0(VALU_DEP_1)
	v_cmpx_lt_i16_e64 0x7f, v170
	s_xor_b32 s15, exec_lo, s15
	s_cbranch_execnz .LBB3_353
; %bb.227:                              ;   in Loop: Header=BB3_130 Depth=1
	s_or_saveexec_b32 s15, s15
	v_mov_b32_e32 v169, s14
	s_xor_b32 exec_lo, exec_lo, s15
	s_cbranch_execnz .LBB3_356
.LBB3_228:                              ;   in Loop: Header=BB3_130 Depth=1
	s_or_b32 exec_lo, exec_lo, s15
	s_and_saveexec_b32 s14, s7
	s_cbranch_execz .LBB3_230
.LBB3_229:                              ;   in Loop: Header=BB3_130 Depth=1
	v_lshrrev_b16 v171, 3, v131
	s_delay_alu instid0(VALU_DEP_1) | instskip(NEXT) | instid1(VALU_DEP_1)
	v_and_b32_e32 v171, 15, v171
	v_and_b32_e32 v173, 0xffff, v171
	v_cmp_eq_u16_e64 vcc_lo, 0, v171
	v_and_b32_e32 v169, 7, v131
	v_lshlrev_b32_e32 v171, 8, v131
	s_delay_alu instid0(VALU_DEP_2) | instskip(NEXT) | instid1(VALU_DEP_2)
	v_clz_i32_u32_e32 v170, v169
	v_and_b32_e32 v171, 0x8000, v171
	s_delay_alu instid0(VALU_DEP_2) | instskip(NEXT) | instid1(VALU_DEP_1)
	v_min_u32_e32 v170, 32, v170
	v_subrev_nc_u32_e32 v172, 28, v170
	v_sub_nc_u32_e32 v170, 29, v170
	s_delay_alu instid0(VALU_DEP_2) | instskip(NEXT) | instid1(VALU_DEP_2)
	v_lshlrev_b32_e32 v172, v172, v131
	v_cndmask_b32_e32 v170, v173, v170, vcc_lo
	s_delay_alu instid0(VALU_DEP_2) | instskip(NEXT) | instid1(VALU_DEP_2)
	v_and_b32_e32 v172, 7, v172
	v_lshl_add_u32 v170, v170, 10, 0x1c00
	s_delay_alu instid0(VALU_DEP_2) | instskip(NEXT) | instid1(VALU_DEP_1)
	v_cndmask_b32_e32 v169, v169, v172, vcc_lo
	v_lshlrev_b32_e32 v169, 7, v169
	s_delay_alu instid0(VALU_DEP_1)
	v_or3_b32 v169, v171, v170, v169
.LBB3_230:                              ;   in Loop: Header=BB3_130 Depth=1
	s_or_b32 exec_lo, exec_lo, s14
	v_lshrrev_b32_e32 v172, 8, v131
	s_mov_b32 s7, 0
	s_mov_b32 s15, exec_lo
                                        ; implicit-def: $sgpr14
	s_delay_alu instid0(VALU_DEP_1) | instskip(NEXT) | instid1(VALU_DEP_1)
	v_and_b32_e32 v171, 0xff, v172
	v_cmpx_lt_i16_e64 0x7f, v171
	s_xor_b32 s15, exec_lo, s15
	s_cbranch_execnz .LBB3_357
; %bb.231:                              ;   in Loop: Header=BB3_130 Depth=1
	s_or_saveexec_b32 s15, s15
	v_mov_b32_e32 v170, s14
	s_xor_b32 exec_lo, exec_lo, s15
	s_cbranch_execnz .LBB3_360
.LBB3_232:                              ;   in Loop: Header=BB3_130 Depth=1
	s_or_b32 exec_lo, exec_lo, s15
	s_and_saveexec_b32 s14, s7
	s_cbranch_execz .LBB3_234
.LBB3_233:                              ;   in Loop: Header=BB3_130 Depth=1
	v_bfe_u32 v170, v131, 8, 3
	v_lshrrev_b16 v173, 3, v172
	s_delay_alu instid0(VALU_DEP_2) | instskip(NEXT) | instid1(VALU_DEP_1)
	v_clz_i32_u32_e32 v171, v170
	v_min_u32_e32 v171, 32, v171
	s_delay_alu instid0(VALU_DEP_1) | instskip(SKIP_1) | instid1(VALU_DEP_2)
	v_subrev_nc_u32_e32 v174, 28, v171
	v_sub_nc_u32_e32 v171, 29, v171
	v_lshlrev_b32_e32 v174, v174, v172
	s_delay_alu instid0(VALU_DEP_1) | instskip(SKIP_1) | instid1(VALU_DEP_1)
	v_and_b32_e32 v174, 7, v174
	v_and_b32_e32 v173, 15, v173
	v_cmp_eq_u16_e64 vcc_lo, 0, v173
	s_delay_alu instid0(VALU_DEP_3) | instskip(SKIP_1) | instid1(VALU_DEP_2)
	v_dual_cndmask_b32 v170, v170, v174 :: v_dual_and_b32 v175, 0xffff, v173
	v_and_b32_e32 v173, 0x8000, v131
	v_dual_cndmask_b32 v171, v175, v171 :: v_dual_lshlrev_b32 v170, 7, v170
	s_delay_alu instid0(VALU_DEP_1) | instskip(NEXT) | instid1(VALU_DEP_1)
	v_lshl_add_u32 v171, v171, 10, 0x1c00
	v_or3_b32 v170, v173, v171, v170
.LBB3_234:                              ;   in Loop: Header=BB3_130 Depth=1
	s_or_b32 exec_lo, exec_lo, s14
	v_lshrrev_b32_e32 v173, 16, v131
	s_mov_b32 s7, 0
	s_mov_b32 s15, exec_lo
                                        ; implicit-def: $sgpr14
	s_delay_alu instid0(VALU_DEP_1) | instskip(NEXT) | instid1(VALU_DEP_1)
	v_and_b32_e32 v174, 0xff, v173
	v_cmpx_lt_i16_e64 0x7f, v174
	s_xor_b32 s15, exec_lo, s15
	s_cbranch_execnz .LBB3_361
; %bb.235:                              ;   in Loop: Header=BB3_130 Depth=1
	s_or_saveexec_b32 s15, s15
	v_mov_b32_e32 v171, s14
	s_xor_b32 exec_lo, exec_lo, s15
	s_cbranch_execnz .LBB3_364
.LBB3_236:                              ;   in Loop: Header=BB3_130 Depth=1
	s_or_b32 exec_lo, exec_lo, s15
	s_and_saveexec_b32 s14, s7
	s_cbranch_execz .LBB3_238
.LBB3_237:                              ;   in Loop: Header=BB3_130 Depth=1
	v_bfe_u32 v171, v131, 16, 3
	v_lshrrev_b32_e32 v176, 19, v131
	v_bfe_u32 v177, v131, 19, 4
	v_and_b32_e32 v172, 0x8000, v172
	s_delay_alu instid0(VALU_DEP_4) | instskip(NEXT) | instid1(VALU_DEP_4)
	v_clz_i32_u32_e32 v174, v171
	v_and_b32_e32 v176, 15, v176
	s_delay_alu instid0(VALU_DEP_2) | instskip(NEXT) | instid1(VALU_DEP_2)
	v_min_u32_e32 v174, 32, v174
	v_cmp_eq_u16_e64 vcc_lo, 0, v176
	s_delay_alu instid0(VALU_DEP_2) | instskip(SKIP_1) | instid1(VALU_DEP_1)
	v_subrev_nc_u32_e32 v175, 28, v174
	v_sub_nc_u32_e32 v174, 29, v174
	v_dual_cndmask_b32 v174, v177, v174 :: v_dual_lshlrev_b32 v175, v175, v173
	s_delay_alu instid0(VALU_DEP_1) | instskip(NEXT) | instid1(VALU_DEP_2)
	v_and_b32_e32 v175, 7, v175
	v_lshl_add_u32 v174, v174, 10, 0x1c00
	s_delay_alu instid0(VALU_DEP_2) | instskip(NEXT) | instid1(VALU_DEP_1)
	v_cndmask_b32_e32 v171, v171, v175, vcc_lo
	v_lshlrev_b32_e32 v171, 7, v171
	s_delay_alu instid0(VALU_DEP_1)
	v_or3_b32 v171, v172, v174, v171
.LBB3_238:                              ;   in Loop: Header=BB3_130 Depth=1
	s_or_b32 exec_lo, exec_lo, s14
	v_lshrrev_b32_e32 v174, 24, v131
	s_mov_b32 s7, 0
	s_mov_b32 s15, exec_lo
                                        ; implicit-def: $sgpr14
	s_delay_alu instid0(VALU_DEP_1)
	v_cmpx_lt_i16_e64 0x7f, v174
	s_xor_b32 s15, exec_lo, s15
	s_cbranch_execnz .LBB3_365
; %bb.239:                              ;   in Loop: Header=BB3_130 Depth=1
	s_or_saveexec_b32 s15, s15
	v_mov_b32_e32 v172, s14
	s_xor_b32 exec_lo, exec_lo, s15
	s_cbranch_execnz .LBB3_368
.LBB3_240:                              ;   in Loop: Header=BB3_130 Depth=1
	s_or_b32 exec_lo, exec_lo, s15
	s_and_saveexec_b32 s14, s7
	s_cbranch_execz .LBB3_242
.LBB3_241:                              ;   in Loop: Header=BB3_130 Depth=1
	v_bfe_u32 v172, v131, 24, 3
	v_lshrrev_b32_e32 v177, 27, v131
	v_bfe_u32 v131, v131, 27, 4
	v_and_b32_e32 v173, 0x8000, v173
	s_delay_alu instid0(VALU_DEP_4) | instskip(NEXT) | instid1(VALU_DEP_1)
	v_clz_i32_u32_e32 v175, v172
	v_min_u32_e32 v175, 32, v175
	s_delay_alu instid0(VALU_DEP_1) | instskip(SKIP_1) | instid1(VALU_DEP_2)
	v_subrev_nc_u32_e32 v176, 28, v175
	v_sub_nc_u32_e32 v175, 29, v175
	v_lshlrev_b32_e32 v174, v176, v174
	v_and_b32_e32 v176, 15, v177
	s_delay_alu instid0(VALU_DEP_1) | instskip(NEXT) | instid1(VALU_DEP_3)
	v_cmp_eq_u16_e64 vcc_lo, 0, v176
	v_dual_cndmask_b32 v131, v131, v175 :: v_dual_and_b32 v174, 7, v174
	s_delay_alu instid0(VALU_DEP_1) | instskip(NEXT) | instid1(VALU_DEP_2)
	v_lshl_add_u32 v131, v131, 10, 0x1c00
	v_cndmask_b32_e32 v172, v172, v174, vcc_lo
	s_delay_alu instid0(VALU_DEP_1) | instskip(NEXT) | instid1(VALU_DEP_1)
	v_lshlrev_b32_e32 v172, 7, v172
	v_or3_b32 v172, v173, v131, v172
.LBB3_242:                              ;   in Loop: Header=BB3_130 Depth=1
	s_or_b32 exec_lo, exec_lo, s14
	v_and_b32_e32 v173, 0xff, v132
	s_mov_b32 s7, 0
	s_mov_b32 s15, exec_lo
                                        ; implicit-def: $sgpr14
	s_delay_alu instid0(VALU_DEP_1)
	v_cmpx_lt_i16_e64 0x7f, v173
	s_xor_b32 s15, exec_lo, s15
	s_cbranch_execnz .LBB3_369
; %bb.243:                              ;   in Loop: Header=BB3_130 Depth=1
	s_or_saveexec_b32 s15, s15
	v_mov_b32_e32 v131, s14
	s_xor_b32 exec_lo, exec_lo, s15
	s_cbranch_execnz .LBB3_372
.LBB3_244:                              ;   in Loop: Header=BB3_130 Depth=1
	s_or_b32 exec_lo, exec_lo, s15
	s_and_saveexec_b32 s14, s7
	s_cbranch_execz .LBB3_246
.LBB3_245:                              ;   in Loop: Header=BB3_130 Depth=1
	v_and_b32_e32 v131, 7, v132
	v_lshrrev_b16 v174, 3, v132
	s_delay_alu instid0(VALU_DEP_2) | instskip(NEXT) | instid1(VALU_DEP_1)
	v_clz_i32_u32_e32 v173, v131
	v_min_u32_e32 v173, 32, v173
	s_delay_alu instid0(VALU_DEP_1) | instskip(SKIP_1) | instid1(VALU_DEP_2)
	v_subrev_nc_u32_e32 v175, 28, v173
	v_sub_nc_u32_e32 v173, 29, v173
	v_lshlrev_b32_e32 v175, v175, v132
	s_delay_alu instid0(VALU_DEP_1) | instskip(SKIP_1) | instid1(VALU_DEP_1)
	v_and_b32_e32 v175, 7, v175
	v_and_b32_e32 v174, 15, v174
	v_cmp_eq_u16_e64 vcc_lo, 0, v174
	s_delay_alu instid0(VALU_DEP_3) | instskip(SKIP_1) | instid1(VALU_DEP_2)
	v_dual_cndmask_b32 v131, v131, v175 :: v_dual_and_b32 v176, 0xffff, v174
	v_lshlrev_b32_e32 v174, 8, v132
	v_lshlrev_b32_e32 v131, 7, v131
	s_delay_alu instid0(VALU_DEP_2) | instskip(NEXT) | instid1(VALU_DEP_1)
	v_dual_cndmask_b32 v173, v176, v173 :: v_dual_and_b32 v174, 0x8000, v174
	v_lshl_add_u32 v173, v173, 10, 0x1c00
	s_delay_alu instid0(VALU_DEP_1)
	v_or3_b32 v131, v174, v173, v131
.LBB3_246:                              ;   in Loop: Header=BB3_130 Depth=1
	s_or_b32 exec_lo, exec_lo, s14
	v_lshrrev_b32_e32 v175, 8, v132
	s_mov_b32 s7, 0
	s_mov_b32 s15, exec_lo
                                        ; implicit-def: $sgpr14
	s_delay_alu instid0(VALU_DEP_1) | instskip(NEXT) | instid1(VALU_DEP_1)
	v_and_b32_e32 v174, 0xff, v175
	v_cmpx_lt_i16_e64 0x7f, v174
	s_xor_b32 s15, exec_lo, s15
	s_cbranch_execnz .LBB3_373
; %bb.247:                              ;   in Loop: Header=BB3_130 Depth=1
	s_or_saveexec_b32 s15, s15
	v_mov_b32_e32 v173, s14
	s_xor_b32 exec_lo, exec_lo, s15
	s_cbranch_execnz .LBB3_376
.LBB3_248:                              ;   in Loop: Header=BB3_130 Depth=1
	s_or_b32 exec_lo, exec_lo, s15
	s_and_saveexec_b32 s14, s7
	s_cbranch_execz .LBB3_250
.LBB3_249:                              ;   in Loop: Header=BB3_130 Depth=1
	v_bfe_u32 v173, v132, 8, 3
	v_lshrrev_b16 v176, 3, v175
	s_delay_alu instid0(VALU_DEP_2) | instskip(NEXT) | instid1(VALU_DEP_1)
	v_clz_i32_u32_e32 v174, v173
	v_min_u32_e32 v174, 32, v174
	s_delay_alu instid0(VALU_DEP_1) | instskip(SKIP_1) | instid1(VALU_DEP_2)
	v_subrev_nc_u32_e32 v177, 28, v174
	v_sub_nc_u32_e32 v174, 29, v174
	v_lshlrev_b32_e32 v177, v177, v175
	s_delay_alu instid0(VALU_DEP_1) | instskip(SKIP_1) | instid1(VALU_DEP_1)
	v_and_b32_e32 v177, 7, v177
	v_and_b32_e32 v176, 15, v176
	v_cmp_eq_u16_e64 vcc_lo, 0, v176
	s_delay_alu instid0(VALU_DEP_3) | instskip(SKIP_1) | instid1(VALU_DEP_2)
	v_dual_cndmask_b32 v173, v173, v177 :: v_dual_and_b32 v178, 0xffff, v176
	v_and_b32_e32 v176, 0x8000, v132
	v_dual_cndmask_b32 v174, v178, v174 :: v_dual_lshlrev_b32 v173, 7, v173
	s_delay_alu instid0(VALU_DEP_1) | instskip(NEXT) | instid1(VALU_DEP_1)
	v_lshl_add_u32 v174, v174, 10, 0x1c00
	v_or3_b32 v173, v176, v174, v173
.LBB3_250:                              ;   in Loop: Header=BB3_130 Depth=1
	s_or_b32 exec_lo, exec_lo, s14
	v_lshrrev_b32_e32 v176, 16, v132
	s_mov_b32 s7, 0
	s_mov_b32 s15, exec_lo
                                        ; implicit-def: $sgpr14
	s_delay_alu instid0(VALU_DEP_1) | instskip(NEXT) | instid1(VALU_DEP_1)
	v_and_b32_e32 v177, 0xff, v176
	v_cmpx_lt_i16_e64 0x7f, v177
	s_xor_b32 s15, exec_lo, s15
	s_cbranch_execnz .LBB3_377
; %bb.251:                              ;   in Loop: Header=BB3_130 Depth=1
	s_or_saveexec_b32 s15, s15
	v_mov_b32_e32 v174, s14
	s_xor_b32 exec_lo, exec_lo, s15
	s_cbranch_execnz .LBB3_380
.LBB3_252:                              ;   in Loop: Header=BB3_130 Depth=1
	s_or_b32 exec_lo, exec_lo, s15
	s_and_saveexec_b32 s14, s7
	s_cbranch_execz .LBB3_254
.LBB3_253:                              ;   in Loop: Header=BB3_130 Depth=1
	v_bfe_u32 v174, v132, 16, 3
	v_lshrrev_b32_e32 v179, 19, v132
	v_bfe_u32 v180, v132, 19, 4
	v_and_b32_e32 v175, 0x8000, v175
	s_delay_alu instid0(VALU_DEP_4) | instskip(NEXT) | instid1(VALU_DEP_4)
	v_clz_i32_u32_e32 v177, v174
	v_and_b32_e32 v179, 15, v179
	s_delay_alu instid0(VALU_DEP_2) | instskip(NEXT) | instid1(VALU_DEP_2)
	v_min_u32_e32 v177, 32, v177
	v_cmp_eq_u16_e64 vcc_lo, 0, v179
	s_delay_alu instid0(VALU_DEP_2) | instskip(SKIP_1) | instid1(VALU_DEP_1)
	v_subrev_nc_u32_e32 v178, 28, v177
	v_sub_nc_u32_e32 v177, 29, v177
	v_dual_cndmask_b32 v177, v180, v177 :: v_dual_lshlrev_b32 v178, v178, v176
	s_delay_alu instid0(VALU_DEP_1) | instskip(NEXT) | instid1(VALU_DEP_2)
	v_and_b32_e32 v178, 7, v178
	v_lshl_add_u32 v177, v177, 10, 0x1c00
	s_delay_alu instid0(VALU_DEP_2) | instskip(NEXT) | instid1(VALU_DEP_1)
	v_cndmask_b32_e32 v174, v174, v178, vcc_lo
	v_lshlrev_b32_e32 v174, 7, v174
	s_delay_alu instid0(VALU_DEP_1)
	v_or3_b32 v174, v175, v177, v174
.LBB3_254:                              ;   in Loop: Header=BB3_130 Depth=1
	s_or_b32 exec_lo, exec_lo, s14
	v_lshrrev_b32_e32 v177, 24, v132
	s_mov_b32 s7, 0
	s_mov_b32 s15, exec_lo
                                        ; implicit-def: $sgpr14
	s_delay_alu instid0(VALU_DEP_1)
	v_cmpx_lt_i16_e64 0x7f, v177
	s_xor_b32 s15, exec_lo, s15
	s_cbranch_execnz .LBB3_381
; %bb.255:                              ;   in Loop: Header=BB3_130 Depth=1
	s_or_saveexec_b32 s15, s15
	v_mov_b32_e32 v175, s14
	s_xor_b32 exec_lo, exec_lo, s15
	s_cbranch_execnz .LBB3_384
.LBB3_256:                              ;   in Loop: Header=BB3_130 Depth=1
	s_or_b32 exec_lo, exec_lo, s15
	s_and_saveexec_b32 s14, s7
	s_cbranch_execz .LBB3_129
	s_branch .LBB3_385
.LBB3_257:                              ;   in Loop: Header=BB3_130 Depth=1
	s_mov_b32 s7, -1
	s_mov_b32 s16, exec_lo
                                        ; implicit-def: $sgpr14
	v_cmpx_eq_u16_e64 0x80, v146
; %bb.258:                              ;   in Loop: Header=BB3_130 Depth=1
	s_movk_i32 s14, 0x7c01
	s_xor_b32 s7, exec_lo, -1
; %bb.259:                              ;   in Loop: Header=BB3_130 Depth=1
	s_or_b32 exec_lo, exec_lo, s16
	s_delay_alu instid0(SALU_CYCLE_1)
	s_and_b32 s7, s7, exec_lo
                                        ; implicit-def: $vgpr146
	s_or_saveexec_b32 s15, s15
	v_mov_b32_e32 v145, s14
	s_xor_b32 exec_lo, exec_lo, s15
	s_cbranch_execz .LBB3_132
.LBB3_260:                              ;   in Loop: Header=BB3_130 Depth=1
	v_cmp_ne_u16_e64 vcc_lo, 0, v146
	v_mov_b32_e32 v145, v146
	s_and_not1_b32 s7, s7, exec_lo
	s_delay_alu instid0(VALU_DEP_2) | instskip(NEXT) | instid1(SALU_CYCLE_1)
	s_and_b32 s14, vcc_lo, exec_lo
	s_or_b32 s7, s7, s14
	s_or_b32 exec_lo, exec_lo, s15
	s_and_saveexec_b32 s14, s7
	s_cbranch_execnz .LBB3_133
	s_branch .LBB3_134
.LBB3_261:                              ;   in Loop: Header=BB3_130 Depth=1
	s_mov_b32 s7, -1
	s_mov_b32 s16, exec_lo
                                        ; implicit-def: $sgpr14
	v_cmpx_eq_u16_e64 0x80, v147
; %bb.262:                              ;   in Loop: Header=BB3_130 Depth=1
	s_movk_i32 s14, 0x7c01
	s_xor_b32 s7, exec_lo, -1
; %bb.263:                              ;   in Loop: Header=BB3_130 Depth=1
	s_or_b32 exec_lo, exec_lo, s16
	s_delay_alu instid0(SALU_CYCLE_1)
	s_and_b32 s7, s7, exec_lo
                                        ; implicit-def: $vgpr147
	s_or_saveexec_b32 s15, s15
	v_mov_b32_e32 v146, s14
	s_xor_b32 exec_lo, exec_lo, s15
	s_cbranch_execz .LBB3_136
.LBB3_264:                              ;   in Loop: Header=BB3_130 Depth=1
	v_cmp_ne_u16_e64 vcc_lo, 0, v147
	v_mov_b32_e32 v146, 0
	s_and_not1_b32 s7, s7, exec_lo
	s_delay_alu instid0(VALU_DEP_2) | instskip(NEXT) | instid1(SALU_CYCLE_1)
	s_and_b32 s14, vcc_lo, exec_lo
	s_or_b32 s7, s7, s14
	s_or_b32 exec_lo, exec_lo, s15
	s_and_saveexec_b32 s14, s7
	s_cbranch_execnz .LBB3_137
	s_branch .LBB3_138
.LBB3_265:                              ;   in Loop: Header=BB3_130 Depth=1
	s_mov_b32 s7, -1
	s_mov_b32 s16, exec_lo
                                        ; implicit-def: $sgpr14
	v_cmpx_eq_u16_e64 0x80, v150
; %bb.266:                              ;   in Loop: Header=BB3_130 Depth=1
	s_movk_i32 s14, 0x7c01
	s_xor_b32 s7, exec_lo, -1
; %bb.267:                              ;   in Loop: Header=BB3_130 Depth=1
	s_or_b32 exec_lo, exec_lo, s16
	s_delay_alu instid0(SALU_CYCLE_1)
	s_and_b32 s7, s7, exec_lo
                                        ; implicit-def: $vgpr150
	s_or_saveexec_b32 s15, s15
	v_mov_b32_e32 v147, s14
	s_xor_b32 exec_lo, exec_lo, s15
	s_cbranch_execz .LBB3_140
.LBB3_268:                              ;   in Loop: Header=BB3_130 Depth=1
	v_cmp_ne_u16_e64 vcc_lo, 0, v150
	v_mov_b32_e32 v147, 0
	s_and_not1_b32 s7, s7, exec_lo
	s_delay_alu instid0(VALU_DEP_2) | instskip(NEXT) | instid1(SALU_CYCLE_1)
	s_and_b32 s14, vcc_lo, exec_lo
	s_or_b32 s7, s7, s14
	s_or_b32 exec_lo, exec_lo, s15
	s_and_saveexec_b32 s14, s7
	s_cbranch_execnz .LBB3_141
	s_branch .LBB3_142
.LBB3_269:                              ;   in Loop: Header=BB3_130 Depth=1
	s_mov_b32 s7, -1
	s_mov_b32 s16, exec_lo
                                        ; implicit-def: $sgpr14
	v_cmpx_eq_u16_e64 0x80, v150
; %bb.270:                              ;   in Loop: Header=BB3_130 Depth=1
	s_movk_i32 s14, 0x7c01
	s_xor_b32 s7, exec_lo, -1
; %bb.271:                              ;   in Loop: Header=BB3_130 Depth=1
	s_or_b32 exec_lo, exec_lo, s16
	s_delay_alu instid0(SALU_CYCLE_1)
	s_and_b32 s7, s7, exec_lo
	s_or_saveexec_b32 s15, s15
	v_mov_b32_e32 v148, s14
	s_xor_b32 exec_lo, exec_lo, s15
	s_cbranch_execz .LBB3_144
.LBB3_272:                              ;   in Loop: Header=BB3_130 Depth=1
	v_cmp_ne_u16_e64 vcc_lo, 0, v150
	v_mov_b32_e32 v148, 0
	s_and_not1_b32 s7, s7, exec_lo
	s_delay_alu instid0(VALU_DEP_2) | instskip(NEXT) | instid1(SALU_CYCLE_1)
	s_and_b32 s14, vcc_lo, exec_lo
	s_or_b32 s7, s7, s14
	s_or_b32 exec_lo, exec_lo, s15
	s_and_saveexec_b32 s14, s7
	s_cbranch_execnz .LBB3_145
	s_branch .LBB3_146
.LBB3_273:                              ;   in Loop: Header=BB3_130 Depth=1
	s_mov_b32 s7, -1
	s_mov_b32 s16, exec_lo
                                        ; implicit-def: $sgpr14
	v_cmpx_eq_u16_e64 0x80, v131
; %bb.274:                              ;   in Loop: Header=BB3_130 Depth=1
	s_movk_i32 s14, 0x7c01
	s_xor_b32 s7, exec_lo, -1
; %bb.275:                              ;   in Loop: Header=BB3_130 Depth=1
	s_or_b32 exec_lo, exec_lo, s16
	s_delay_alu instid0(SALU_CYCLE_1)
	s_and_b32 s7, s7, exec_lo
                                        ; implicit-def: $vgpr131
	s_or_saveexec_b32 s15, s15
	v_mov_b32_e32 v149, s14
	s_xor_b32 exec_lo, exec_lo, s15
	s_cbranch_execz .LBB3_148
.LBB3_276:                              ;   in Loop: Header=BB3_130 Depth=1
	v_cmp_ne_u16_e64 vcc_lo, 0, v131
	v_mov_b32_e32 v149, 0
	s_and_not1_b32 s7, s7, exec_lo
	s_delay_alu instid0(VALU_DEP_2) | instskip(NEXT) | instid1(SALU_CYCLE_1)
	s_and_b32 s14, vcc_lo, exec_lo
	s_or_b32 s7, s7, s14
	s_or_b32 exec_lo, exec_lo, s15
	s_and_saveexec_b32 s14, s7
	s_cbranch_execnz .LBB3_149
	s_branch .LBB3_150
.LBB3_277:                              ;   in Loop: Header=BB3_130 Depth=1
	s_mov_b32 s7, -1
	s_mov_b32 s16, exec_lo
                                        ; implicit-def: $sgpr14
	v_cmpx_eq_u16_e64 0x80, v151
; %bb.278:                              ;   in Loop: Header=BB3_130 Depth=1
	s_movk_i32 s14, 0x7c01
	s_xor_b32 s7, exec_lo, -1
; %bb.279:                              ;   in Loop: Header=BB3_130 Depth=1
	s_or_b32 exec_lo, exec_lo, s16
	s_delay_alu instid0(SALU_CYCLE_1)
	s_and_b32 s7, s7, exec_lo
                                        ; implicit-def: $vgpr151
	s_or_saveexec_b32 s15, s15
	v_mov_b32_e32 v150, s14
	s_xor_b32 exec_lo, exec_lo, s15
	s_cbranch_execz .LBB3_152
.LBB3_280:                              ;   in Loop: Header=BB3_130 Depth=1
	v_cmp_ne_u16_e64 vcc_lo, 0, v151
	v_mov_b32_e32 v150, 0
	s_and_not1_b32 s7, s7, exec_lo
	s_delay_alu instid0(VALU_DEP_2) | instskip(NEXT) | instid1(SALU_CYCLE_1)
	s_and_b32 s14, vcc_lo, exec_lo
	s_or_b32 s7, s7, s14
	s_or_b32 exec_lo, exec_lo, s15
	s_and_saveexec_b32 s14, s7
	s_cbranch_execnz .LBB3_153
	s_branch .LBB3_154
.LBB3_281:                              ;   in Loop: Header=BB3_130 Depth=1
	s_mov_b32 s7, -1
	s_mov_b32 s16, exec_lo
                                        ; implicit-def: $sgpr14
	v_cmpx_eq_u16_e64 0x80, v152
; %bb.282:                              ;   in Loop: Header=BB3_130 Depth=1
	s_movk_i32 s14, 0x7c01
	s_xor_b32 s7, exec_lo, -1
; %bb.283:                              ;   in Loop: Header=BB3_130 Depth=1
	s_or_b32 exec_lo, exec_lo, s16
	s_delay_alu instid0(SALU_CYCLE_1)
	s_and_b32 s7, s7, exec_lo
                                        ; implicit-def: $vgpr152
	s_or_saveexec_b32 s15, s15
	v_mov_b32_e32 v151, s14
	s_xor_b32 exec_lo, exec_lo, s15
	s_cbranch_execz .LBB3_156
.LBB3_284:                              ;   in Loop: Header=BB3_130 Depth=1
	v_cmp_ne_u16_e64 vcc_lo, 0, v152
	v_mov_b32_e32 v151, 0
	s_and_not1_b32 s7, s7, exec_lo
	s_delay_alu instid0(VALU_DEP_2) | instskip(NEXT) | instid1(SALU_CYCLE_1)
	s_and_b32 s14, vcc_lo, exec_lo
	s_or_b32 s7, s7, s14
	s_or_b32 exec_lo, exec_lo, s15
	s_and_saveexec_b32 s14, s7
	s_cbranch_execnz .LBB3_157
	s_branch .LBB3_158
.LBB3_285:                              ;   in Loop: Header=BB3_130 Depth=1
	s_mov_b32 s7, -1
	s_mov_b32 s16, exec_lo
                                        ; implicit-def: $sgpr14
	v_cmpx_eq_u16_e64 0x80, v131
; %bb.286:                              ;   in Loop: Header=BB3_130 Depth=1
	s_movk_i32 s14, 0x7c01
	s_xor_b32 s7, exec_lo, -1
; %bb.287:                              ;   in Loop: Header=BB3_130 Depth=1
	s_or_b32 exec_lo, exec_lo, s16
	s_delay_alu instid0(SALU_CYCLE_1)
	s_and_b32 s7, s7, exec_lo
	s_or_saveexec_b32 s15, s15
	v_mov_b32_e32 v152, s14
	s_xor_b32 exec_lo, exec_lo, s15
	s_cbranch_execz .LBB3_160
.LBB3_288:                              ;   in Loop: Header=BB3_130 Depth=1
	v_cmp_ne_u16_e64 vcc_lo, 0, v131
	v_mov_b32_e32 v152, 0
	s_and_not1_b32 s7, s7, exec_lo
	s_delay_alu instid0(VALU_DEP_2) | instskip(NEXT) | instid1(SALU_CYCLE_1)
	s_and_b32 s14, vcc_lo, exec_lo
	s_or_b32 s7, s7, s14
	s_or_b32 exec_lo, exec_lo, s15
	s_and_saveexec_b32 s14, s7
	s_cbranch_execnz .LBB3_161
	s_branch .LBB3_162
.LBB3_289:                              ;   in Loop: Header=BB3_130 Depth=1
	s_mov_b32 s7, -1
	s_mov_b32 s16, exec_lo
                                        ; implicit-def: $sgpr14
	v_cmpx_eq_u16_e64 0x80, v154
; %bb.290:                              ;   in Loop: Header=BB3_130 Depth=1
	s_movk_i32 s14, 0x7c01
	s_xor_b32 s7, exec_lo, -1
; %bb.291:                              ;   in Loop: Header=BB3_130 Depth=1
	s_or_b32 exec_lo, exec_lo, s16
	s_delay_alu instid0(SALU_CYCLE_1)
	s_and_b32 s7, s7, exec_lo
                                        ; implicit-def: $vgpr154
	s_or_saveexec_b32 s15, s15
	v_mov_b32_e32 v153, s14
	s_xor_b32 exec_lo, exec_lo, s15
	s_cbranch_execz .LBB3_164
.LBB3_292:                              ;   in Loop: Header=BB3_130 Depth=1
	v_cmp_ne_u16_e64 vcc_lo, 0, v154
	v_mov_b32_e32 v153, v154
	s_and_not1_b32 s7, s7, exec_lo
	s_delay_alu instid0(VALU_DEP_2) | instskip(NEXT) | instid1(SALU_CYCLE_1)
	s_and_b32 s14, vcc_lo, exec_lo
	s_or_b32 s7, s7, s14
	s_or_b32 exec_lo, exec_lo, s15
	s_and_saveexec_b32 s14, s7
	s_cbranch_execnz .LBB3_165
	s_branch .LBB3_166
.LBB3_293:                              ;   in Loop: Header=BB3_130 Depth=1
	s_mov_b32 s7, -1
	s_mov_b32 s16, exec_lo
                                        ; implicit-def: $sgpr14
	v_cmpx_eq_u16_e64 0x80, v155
; %bb.294:                              ;   in Loop: Header=BB3_130 Depth=1
	s_movk_i32 s14, 0x7c01
	s_xor_b32 s7, exec_lo, -1
; %bb.295:                              ;   in Loop: Header=BB3_130 Depth=1
	s_or_b32 exec_lo, exec_lo, s16
	s_delay_alu instid0(SALU_CYCLE_1)
	s_and_b32 s7, s7, exec_lo
                                        ; implicit-def: $vgpr155
	s_or_saveexec_b32 s15, s15
	v_mov_b32_e32 v154, s14
	s_xor_b32 exec_lo, exec_lo, s15
	s_cbranch_execz .LBB3_168
.LBB3_296:                              ;   in Loop: Header=BB3_130 Depth=1
	v_cmp_ne_u16_e64 vcc_lo, 0, v155
	v_mov_b32_e32 v154, 0
	s_and_not1_b32 s7, s7, exec_lo
	s_delay_alu instid0(VALU_DEP_2) | instskip(NEXT) | instid1(SALU_CYCLE_1)
	s_and_b32 s14, vcc_lo, exec_lo
	s_or_b32 s7, s7, s14
	s_or_b32 exec_lo, exec_lo, s15
	s_and_saveexec_b32 s14, s7
	s_cbranch_execnz .LBB3_169
	s_branch .LBB3_170
.LBB3_297:                              ;   in Loop: Header=BB3_130 Depth=1
	s_mov_b32 s7, -1
	s_mov_b32 s16, exec_lo
                                        ; implicit-def: $sgpr14
	v_cmpx_eq_u16_e64 0x80, v158
; %bb.298:                              ;   in Loop: Header=BB3_130 Depth=1
	s_movk_i32 s14, 0x7c01
	s_xor_b32 s7, exec_lo, -1
; %bb.299:                              ;   in Loop: Header=BB3_130 Depth=1
	s_or_b32 exec_lo, exec_lo, s16
	s_delay_alu instid0(SALU_CYCLE_1)
	s_and_b32 s7, s7, exec_lo
                                        ; implicit-def: $vgpr158
	s_or_saveexec_b32 s15, s15
	v_mov_b32_e32 v155, s14
	s_xor_b32 exec_lo, exec_lo, s15
	s_cbranch_execz .LBB3_172
.LBB3_300:                              ;   in Loop: Header=BB3_130 Depth=1
	v_cmp_ne_u16_e64 vcc_lo, 0, v158
	v_mov_b32_e32 v155, 0
	s_and_not1_b32 s7, s7, exec_lo
	s_delay_alu instid0(VALU_DEP_2) | instskip(NEXT) | instid1(SALU_CYCLE_1)
	s_and_b32 s14, vcc_lo, exec_lo
	s_or_b32 s7, s7, s14
	s_or_b32 exec_lo, exec_lo, s15
	s_and_saveexec_b32 s14, s7
	s_cbranch_execnz .LBB3_173
	s_branch .LBB3_174
.LBB3_301:                              ;   in Loop: Header=BB3_130 Depth=1
	s_mov_b32 s7, -1
	s_mov_b32 s16, exec_lo
                                        ; implicit-def: $sgpr14
	v_cmpx_eq_u16_e64 0x80, v158
; %bb.302:                              ;   in Loop: Header=BB3_130 Depth=1
	s_movk_i32 s14, 0x7c01
	s_xor_b32 s7, exec_lo, -1
; %bb.303:                              ;   in Loop: Header=BB3_130 Depth=1
	s_or_b32 exec_lo, exec_lo, s16
	s_delay_alu instid0(SALU_CYCLE_1)
	s_and_b32 s7, s7, exec_lo
	s_or_saveexec_b32 s15, s15
	v_mov_b32_e32 v156, s14
	s_xor_b32 exec_lo, exec_lo, s15
	s_cbranch_execz .LBB3_176
.LBB3_304:                              ;   in Loop: Header=BB3_130 Depth=1
	v_cmp_ne_u16_e64 vcc_lo, 0, v158
	v_mov_b32_e32 v156, 0
	s_and_not1_b32 s7, s7, exec_lo
	s_delay_alu instid0(VALU_DEP_2) | instskip(NEXT) | instid1(SALU_CYCLE_1)
	s_and_b32 s14, vcc_lo, exec_lo
	s_or_b32 s7, s7, s14
	s_or_b32 exec_lo, exec_lo, s15
	s_and_saveexec_b32 s14, s7
	s_cbranch_execnz .LBB3_177
	s_branch .LBB3_178
.LBB3_305:                              ;   in Loop: Header=BB3_130 Depth=1
	s_mov_b32 s7, -1
	s_mov_b32 s16, exec_lo
                                        ; implicit-def: $sgpr14
	v_cmpx_eq_u16_e64 0x80, v131
; %bb.306:                              ;   in Loop: Header=BB3_130 Depth=1
	s_movk_i32 s14, 0x7c01
	s_xor_b32 s7, exec_lo, -1
; %bb.307:                              ;   in Loop: Header=BB3_130 Depth=1
	s_or_b32 exec_lo, exec_lo, s16
	s_delay_alu instid0(SALU_CYCLE_1)
	s_and_b32 s7, s7, exec_lo
                                        ; implicit-def: $vgpr131
	s_or_saveexec_b32 s15, s15
	v_mov_b32_e32 v157, s14
	s_xor_b32 exec_lo, exec_lo, s15
	s_cbranch_execz .LBB3_180
.LBB3_308:                              ;   in Loop: Header=BB3_130 Depth=1
	v_cmp_ne_u16_e64 vcc_lo, 0, v131
	v_mov_b32_e32 v157, 0
	s_and_not1_b32 s7, s7, exec_lo
	s_delay_alu instid0(VALU_DEP_2) | instskip(NEXT) | instid1(SALU_CYCLE_1)
	s_and_b32 s14, vcc_lo, exec_lo
	s_or_b32 s7, s7, s14
	s_or_b32 exec_lo, exec_lo, s15
	s_and_saveexec_b32 s14, s7
	s_cbranch_execnz .LBB3_181
	s_branch .LBB3_182
.LBB3_309:                              ;   in Loop: Header=BB3_130 Depth=1
	s_mov_b32 s7, -1
	s_mov_b32 s16, exec_lo
                                        ; implicit-def: $sgpr14
	v_cmpx_eq_u16_e64 0x80, v159
; %bb.310:                              ;   in Loop: Header=BB3_130 Depth=1
	s_movk_i32 s14, 0x7c01
	s_xor_b32 s7, exec_lo, -1
; %bb.311:                              ;   in Loop: Header=BB3_130 Depth=1
	s_or_b32 exec_lo, exec_lo, s16
	s_delay_alu instid0(SALU_CYCLE_1)
	s_and_b32 s7, s7, exec_lo
                                        ; implicit-def: $vgpr159
	s_or_saveexec_b32 s15, s15
	v_mov_b32_e32 v158, s14
	s_xor_b32 exec_lo, exec_lo, s15
	s_cbranch_execz .LBB3_184
.LBB3_312:                              ;   in Loop: Header=BB3_130 Depth=1
	v_cmp_ne_u16_e64 vcc_lo, 0, v159
	v_mov_b32_e32 v158, 0
	s_and_not1_b32 s7, s7, exec_lo
	s_delay_alu instid0(VALU_DEP_2) | instskip(NEXT) | instid1(SALU_CYCLE_1)
	s_and_b32 s14, vcc_lo, exec_lo
	s_or_b32 s7, s7, s14
	s_or_b32 exec_lo, exec_lo, s15
	s_and_saveexec_b32 s14, s7
	s_cbranch_execnz .LBB3_185
	s_branch .LBB3_186
.LBB3_313:                              ;   in Loop: Header=BB3_130 Depth=1
	s_mov_b32 s7, -1
	s_mov_b32 s16, exec_lo
                                        ; implicit-def: $sgpr14
	v_cmpx_eq_u16_e64 0x80, v160
; %bb.314:                              ;   in Loop: Header=BB3_130 Depth=1
	s_movk_i32 s14, 0x7c01
	s_xor_b32 s7, exec_lo, -1
; %bb.315:                              ;   in Loop: Header=BB3_130 Depth=1
	s_or_b32 exec_lo, exec_lo, s16
	s_delay_alu instid0(SALU_CYCLE_1)
	s_and_b32 s7, s7, exec_lo
                                        ; implicit-def: $vgpr160
	s_or_saveexec_b32 s15, s15
	v_mov_b32_e32 v159, s14
	s_xor_b32 exec_lo, exec_lo, s15
	s_cbranch_execz .LBB3_188
.LBB3_316:                              ;   in Loop: Header=BB3_130 Depth=1
	v_cmp_ne_u16_e64 vcc_lo, 0, v160
	v_mov_b32_e32 v159, 0
	s_and_not1_b32 s7, s7, exec_lo
	s_delay_alu instid0(VALU_DEP_2) | instskip(NEXT) | instid1(SALU_CYCLE_1)
	s_and_b32 s14, vcc_lo, exec_lo
	s_or_b32 s7, s7, s14
	s_or_b32 exec_lo, exec_lo, s15
	s_and_saveexec_b32 s14, s7
	s_cbranch_execnz .LBB3_189
	s_branch .LBB3_190
.LBB3_317:                              ;   in Loop: Header=BB3_130 Depth=1
	s_mov_b32 s7, -1
	s_mov_b32 s16, exec_lo
                                        ; implicit-def: $sgpr14
	v_cmpx_eq_u16_e64 0x80, v131
; %bb.318:                              ;   in Loop: Header=BB3_130 Depth=1
	s_movk_i32 s14, 0x7c01
	s_xor_b32 s7, exec_lo, -1
; %bb.319:                              ;   in Loop: Header=BB3_130 Depth=1
	s_or_b32 exec_lo, exec_lo, s16
	s_delay_alu instid0(SALU_CYCLE_1)
	s_and_b32 s7, s7, exec_lo
	s_or_saveexec_b32 s15, s15
	v_mov_b32_e32 v160, s14
	s_xor_b32 exec_lo, exec_lo, s15
	s_cbranch_execz .LBB3_192
.LBB3_320:                              ;   in Loop: Header=BB3_130 Depth=1
	v_cmp_ne_u16_e64 vcc_lo, 0, v131
	v_mov_b32_e32 v160, 0
	s_and_not1_b32 s7, s7, exec_lo
	s_delay_alu instid0(VALU_DEP_2) | instskip(NEXT) | instid1(SALU_CYCLE_1)
	s_and_b32 s14, vcc_lo, exec_lo
	s_or_b32 s7, s7, s14
	s_or_b32 exec_lo, exec_lo, s15
	s_and_saveexec_b32 s14, s7
	s_cbranch_execnz .LBB3_193
	s_branch .LBB3_194
.LBB3_321:                              ;   in Loop: Header=BB3_130 Depth=1
	s_mov_b32 s7, -1
	s_mov_b32 s16, exec_lo
                                        ; implicit-def: $sgpr14
	v_cmpx_eq_u16_e64 0x80, v162
; %bb.322:                              ;   in Loop: Header=BB3_130 Depth=1
	s_movk_i32 s14, 0x7c01
	s_xor_b32 s7, exec_lo, -1
; %bb.323:                              ;   in Loop: Header=BB3_130 Depth=1
	s_or_b32 exec_lo, exec_lo, s16
	s_delay_alu instid0(SALU_CYCLE_1)
	s_and_b32 s7, s7, exec_lo
                                        ; implicit-def: $vgpr162
	s_or_saveexec_b32 s15, s15
	v_mov_b32_e32 v161, s14
	s_xor_b32 exec_lo, exec_lo, s15
	s_cbranch_execz .LBB3_196
.LBB3_324:                              ;   in Loop: Header=BB3_130 Depth=1
	v_cmp_ne_u16_e64 vcc_lo, 0, v162
	v_mov_b32_e32 v161, v162
	s_and_not1_b32 s7, s7, exec_lo
	s_delay_alu instid0(VALU_DEP_2) | instskip(NEXT) | instid1(SALU_CYCLE_1)
	s_and_b32 s14, vcc_lo, exec_lo
	s_or_b32 s7, s7, s14
	s_or_b32 exec_lo, exec_lo, s15
	s_and_saveexec_b32 s14, s7
	s_cbranch_execnz .LBB3_197
	s_branch .LBB3_198
.LBB3_325:                              ;   in Loop: Header=BB3_130 Depth=1
	s_mov_b32 s7, -1
	s_mov_b32 s16, exec_lo
                                        ; implicit-def: $sgpr14
	v_cmpx_eq_u16_e64 0x80, v163
; %bb.326:                              ;   in Loop: Header=BB3_130 Depth=1
	s_movk_i32 s14, 0x7c01
	s_xor_b32 s7, exec_lo, -1
; %bb.327:                              ;   in Loop: Header=BB3_130 Depth=1
	s_or_b32 exec_lo, exec_lo, s16
	s_delay_alu instid0(SALU_CYCLE_1)
	s_and_b32 s7, s7, exec_lo
                                        ; implicit-def: $vgpr163
	s_or_saveexec_b32 s15, s15
	v_mov_b32_e32 v162, s14
	s_xor_b32 exec_lo, exec_lo, s15
	s_cbranch_execz .LBB3_200
.LBB3_328:                              ;   in Loop: Header=BB3_130 Depth=1
	v_cmp_ne_u16_e64 vcc_lo, 0, v163
	v_mov_b32_e32 v162, 0
	s_and_not1_b32 s7, s7, exec_lo
	s_delay_alu instid0(VALU_DEP_2) | instskip(NEXT) | instid1(SALU_CYCLE_1)
	s_and_b32 s14, vcc_lo, exec_lo
	s_or_b32 s7, s7, s14
	s_or_b32 exec_lo, exec_lo, s15
	s_and_saveexec_b32 s14, s7
	s_cbranch_execnz .LBB3_201
	s_branch .LBB3_202
.LBB3_329:                              ;   in Loop: Header=BB3_130 Depth=1
	s_mov_b32 s7, -1
	s_mov_b32 s16, exec_lo
                                        ; implicit-def: $sgpr14
	v_cmpx_eq_u16_e64 0x80, v166
; %bb.330:                              ;   in Loop: Header=BB3_130 Depth=1
	s_movk_i32 s14, 0x7c01
	s_xor_b32 s7, exec_lo, -1
; %bb.331:                              ;   in Loop: Header=BB3_130 Depth=1
	s_or_b32 exec_lo, exec_lo, s16
	s_delay_alu instid0(SALU_CYCLE_1)
	s_and_b32 s7, s7, exec_lo
                                        ; implicit-def: $vgpr166
	s_or_saveexec_b32 s15, s15
	v_mov_b32_e32 v163, s14
	s_xor_b32 exec_lo, exec_lo, s15
	s_cbranch_execz .LBB3_204
.LBB3_332:                              ;   in Loop: Header=BB3_130 Depth=1
	v_cmp_ne_u16_e64 vcc_lo, 0, v166
	v_mov_b32_e32 v163, 0
	s_and_not1_b32 s7, s7, exec_lo
	s_delay_alu instid0(VALU_DEP_2) | instskip(NEXT) | instid1(SALU_CYCLE_1)
	s_and_b32 s14, vcc_lo, exec_lo
	s_or_b32 s7, s7, s14
	s_or_b32 exec_lo, exec_lo, s15
	s_and_saveexec_b32 s14, s7
	s_cbranch_execnz .LBB3_205
	s_branch .LBB3_206
.LBB3_333:                              ;   in Loop: Header=BB3_130 Depth=1
	s_mov_b32 s7, -1
	s_mov_b32 s16, exec_lo
                                        ; implicit-def: $sgpr14
	v_cmpx_eq_u16_e64 0x80, v166
; %bb.334:                              ;   in Loop: Header=BB3_130 Depth=1
	s_movk_i32 s14, 0x7c01
	s_xor_b32 s7, exec_lo, -1
; %bb.335:                              ;   in Loop: Header=BB3_130 Depth=1
	s_or_b32 exec_lo, exec_lo, s16
	s_delay_alu instid0(SALU_CYCLE_1)
	s_and_b32 s7, s7, exec_lo
	s_or_saveexec_b32 s15, s15
	v_mov_b32_e32 v164, s14
	s_xor_b32 exec_lo, exec_lo, s15
	s_cbranch_execz .LBB3_208
.LBB3_336:                              ;   in Loop: Header=BB3_130 Depth=1
	v_cmp_ne_u16_e64 vcc_lo, 0, v166
	v_mov_b32_e32 v164, 0
	s_and_not1_b32 s7, s7, exec_lo
	s_delay_alu instid0(VALU_DEP_2) | instskip(NEXT) | instid1(SALU_CYCLE_1)
	s_and_b32 s14, vcc_lo, exec_lo
	s_or_b32 s7, s7, s14
	s_or_b32 exec_lo, exec_lo, s15
	s_and_saveexec_b32 s14, s7
	s_cbranch_execnz .LBB3_209
	s_branch .LBB3_210
.LBB3_337:                              ;   in Loop: Header=BB3_130 Depth=1
	s_mov_b32 s7, -1
	s_mov_b32 s16, exec_lo
                                        ; implicit-def: $sgpr14
	v_cmpx_eq_u16_e64 0x80, v131
; %bb.338:                              ;   in Loop: Header=BB3_130 Depth=1
	s_movk_i32 s14, 0x7c01
	s_xor_b32 s7, exec_lo, -1
; %bb.339:                              ;   in Loop: Header=BB3_130 Depth=1
	s_or_b32 exec_lo, exec_lo, s16
	s_delay_alu instid0(SALU_CYCLE_1)
	s_and_b32 s7, s7, exec_lo
                                        ; implicit-def: $vgpr131
	s_or_saveexec_b32 s15, s15
	v_mov_b32_e32 v165, s14
	s_xor_b32 exec_lo, exec_lo, s15
	s_cbranch_execz .LBB3_212
.LBB3_340:                              ;   in Loop: Header=BB3_130 Depth=1
	v_cmp_ne_u16_e64 vcc_lo, 0, v131
	v_mov_b32_e32 v165, 0
	s_and_not1_b32 s7, s7, exec_lo
	s_delay_alu instid0(VALU_DEP_2) | instskip(NEXT) | instid1(SALU_CYCLE_1)
	s_and_b32 s14, vcc_lo, exec_lo
	s_or_b32 s7, s7, s14
	s_or_b32 exec_lo, exec_lo, s15
	s_and_saveexec_b32 s14, s7
	s_cbranch_execnz .LBB3_213
	s_branch .LBB3_214
.LBB3_341:                              ;   in Loop: Header=BB3_130 Depth=1
	s_mov_b32 s7, -1
	s_mov_b32 s16, exec_lo
                                        ; implicit-def: $sgpr14
	v_cmpx_eq_u16_e64 0x80, v167
; %bb.342:                              ;   in Loop: Header=BB3_130 Depth=1
	s_movk_i32 s14, 0x7c01
	s_xor_b32 s7, exec_lo, -1
; %bb.343:                              ;   in Loop: Header=BB3_130 Depth=1
	s_or_b32 exec_lo, exec_lo, s16
	s_delay_alu instid0(SALU_CYCLE_1)
	s_and_b32 s7, s7, exec_lo
                                        ; implicit-def: $vgpr167
	s_or_saveexec_b32 s15, s15
	v_mov_b32_e32 v166, s14
	s_xor_b32 exec_lo, exec_lo, s15
	s_cbranch_execz .LBB3_216
.LBB3_344:                              ;   in Loop: Header=BB3_130 Depth=1
	v_cmp_ne_u16_e64 vcc_lo, 0, v167
	v_mov_b32_e32 v166, 0
	s_and_not1_b32 s7, s7, exec_lo
	s_delay_alu instid0(VALU_DEP_2) | instskip(NEXT) | instid1(SALU_CYCLE_1)
	s_and_b32 s14, vcc_lo, exec_lo
	s_or_b32 s7, s7, s14
	s_or_b32 exec_lo, exec_lo, s15
	s_and_saveexec_b32 s14, s7
	s_cbranch_execnz .LBB3_217
	s_branch .LBB3_218
.LBB3_345:                              ;   in Loop: Header=BB3_130 Depth=1
	s_mov_b32 s7, -1
	s_mov_b32 s16, exec_lo
                                        ; implicit-def: $sgpr14
	v_cmpx_eq_u16_e64 0x80, v168
; %bb.346:                              ;   in Loop: Header=BB3_130 Depth=1
	s_movk_i32 s14, 0x7c01
	s_xor_b32 s7, exec_lo, -1
; %bb.347:                              ;   in Loop: Header=BB3_130 Depth=1
	s_or_b32 exec_lo, exec_lo, s16
	s_delay_alu instid0(SALU_CYCLE_1)
	s_and_b32 s7, s7, exec_lo
                                        ; implicit-def: $vgpr168
	s_or_saveexec_b32 s15, s15
	v_mov_b32_e32 v167, s14
	s_xor_b32 exec_lo, exec_lo, s15
	s_cbranch_execz .LBB3_220
.LBB3_348:                              ;   in Loop: Header=BB3_130 Depth=1
	v_cmp_ne_u16_e64 vcc_lo, 0, v168
	v_mov_b32_e32 v167, 0
	s_and_not1_b32 s7, s7, exec_lo
	s_delay_alu instid0(VALU_DEP_2) | instskip(NEXT) | instid1(SALU_CYCLE_1)
	s_and_b32 s14, vcc_lo, exec_lo
	s_or_b32 s7, s7, s14
	s_or_b32 exec_lo, exec_lo, s15
	s_and_saveexec_b32 s14, s7
	s_cbranch_execnz .LBB3_221
	s_branch .LBB3_222
.LBB3_349:                              ;   in Loop: Header=BB3_130 Depth=1
	s_mov_b32 s7, -1
	s_mov_b32 s16, exec_lo
                                        ; implicit-def: $sgpr14
	v_cmpx_eq_u16_e64 0x80, v131
; %bb.350:                              ;   in Loop: Header=BB3_130 Depth=1
	s_movk_i32 s14, 0x7c01
	s_xor_b32 s7, exec_lo, -1
; %bb.351:                              ;   in Loop: Header=BB3_130 Depth=1
	s_or_b32 exec_lo, exec_lo, s16
	s_delay_alu instid0(SALU_CYCLE_1)
	s_and_b32 s7, s7, exec_lo
	s_or_saveexec_b32 s15, s15
	v_mov_b32_e32 v168, s14
	s_xor_b32 exec_lo, exec_lo, s15
	s_cbranch_execz .LBB3_224
.LBB3_352:                              ;   in Loop: Header=BB3_130 Depth=1
	v_cmp_ne_u16_e64 vcc_lo, 0, v131
	v_mov_b32_e32 v168, 0
	s_and_not1_b32 s7, s7, exec_lo
	s_delay_alu instid0(VALU_DEP_2) | instskip(NEXT) | instid1(SALU_CYCLE_1)
	s_and_b32 s14, vcc_lo, exec_lo
	s_or_b32 s7, s7, s14
	s_or_b32 exec_lo, exec_lo, s15
	s_and_saveexec_b32 s14, s7
	s_cbranch_execnz .LBB3_225
	s_branch .LBB3_226
.LBB3_353:                              ;   in Loop: Header=BB3_130 Depth=1
	s_mov_b32 s7, -1
	s_mov_b32 s16, exec_lo
                                        ; implicit-def: $sgpr14
	v_cmpx_eq_u16_e64 0x80, v170
; %bb.354:                              ;   in Loop: Header=BB3_130 Depth=1
	s_movk_i32 s14, 0x7c01
	s_xor_b32 s7, exec_lo, -1
; %bb.355:                              ;   in Loop: Header=BB3_130 Depth=1
	s_or_b32 exec_lo, exec_lo, s16
	s_delay_alu instid0(SALU_CYCLE_1)
	s_and_b32 s7, s7, exec_lo
                                        ; implicit-def: $vgpr170
	s_or_saveexec_b32 s15, s15
	v_mov_b32_e32 v169, s14
	s_xor_b32 exec_lo, exec_lo, s15
	s_cbranch_execz .LBB3_228
.LBB3_356:                              ;   in Loop: Header=BB3_130 Depth=1
	v_cmp_ne_u16_e64 vcc_lo, 0, v170
	v_mov_b32_e32 v169, v170
	s_and_not1_b32 s7, s7, exec_lo
	s_delay_alu instid0(VALU_DEP_2) | instskip(NEXT) | instid1(SALU_CYCLE_1)
	s_and_b32 s14, vcc_lo, exec_lo
	s_or_b32 s7, s7, s14
	s_or_b32 exec_lo, exec_lo, s15
	s_and_saveexec_b32 s14, s7
	s_cbranch_execnz .LBB3_229
	s_branch .LBB3_230
.LBB3_357:                              ;   in Loop: Header=BB3_130 Depth=1
	s_mov_b32 s7, -1
	s_mov_b32 s16, exec_lo
                                        ; implicit-def: $sgpr14
	v_cmpx_eq_u16_e64 0x80, v171
; %bb.358:                              ;   in Loop: Header=BB3_130 Depth=1
	s_movk_i32 s14, 0x7c01
	s_xor_b32 s7, exec_lo, -1
; %bb.359:                              ;   in Loop: Header=BB3_130 Depth=1
	s_or_b32 exec_lo, exec_lo, s16
	s_delay_alu instid0(SALU_CYCLE_1)
	s_and_b32 s7, s7, exec_lo
                                        ; implicit-def: $vgpr171
	s_or_saveexec_b32 s15, s15
	v_mov_b32_e32 v170, s14
	s_xor_b32 exec_lo, exec_lo, s15
	s_cbranch_execz .LBB3_232
.LBB3_360:                              ;   in Loop: Header=BB3_130 Depth=1
	v_cmp_ne_u16_e64 vcc_lo, 0, v171
	v_mov_b32_e32 v170, 0
	s_and_not1_b32 s7, s7, exec_lo
	s_delay_alu instid0(VALU_DEP_2) | instskip(NEXT) | instid1(SALU_CYCLE_1)
	s_and_b32 s14, vcc_lo, exec_lo
	s_or_b32 s7, s7, s14
	s_or_b32 exec_lo, exec_lo, s15
	s_and_saveexec_b32 s14, s7
	s_cbranch_execnz .LBB3_233
	s_branch .LBB3_234
.LBB3_361:                              ;   in Loop: Header=BB3_130 Depth=1
	s_mov_b32 s7, -1
	s_mov_b32 s16, exec_lo
                                        ; implicit-def: $sgpr14
	v_cmpx_eq_u16_e64 0x80, v174
; %bb.362:                              ;   in Loop: Header=BB3_130 Depth=1
	s_movk_i32 s14, 0x7c01
	s_xor_b32 s7, exec_lo, -1
; %bb.363:                              ;   in Loop: Header=BB3_130 Depth=1
	s_or_b32 exec_lo, exec_lo, s16
	s_delay_alu instid0(SALU_CYCLE_1)
	s_and_b32 s7, s7, exec_lo
                                        ; implicit-def: $vgpr174
	s_or_saveexec_b32 s15, s15
	v_mov_b32_e32 v171, s14
	s_xor_b32 exec_lo, exec_lo, s15
	s_cbranch_execz .LBB3_236
.LBB3_364:                              ;   in Loop: Header=BB3_130 Depth=1
	v_cmp_ne_u16_e64 vcc_lo, 0, v174
	v_mov_b32_e32 v171, 0
	s_and_not1_b32 s7, s7, exec_lo
	s_delay_alu instid0(VALU_DEP_2) | instskip(NEXT) | instid1(SALU_CYCLE_1)
	s_and_b32 s14, vcc_lo, exec_lo
	s_or_b32 s7, s7, s14
	s_or_b32 exec_lo, exec_lo, s15
	s_and_saveexec_b32 s14, s7
	s_cbranch_execnz .LBB3_237
	s_branch .LBB3_238
.LBB3_365:                              ;   in Loop: Header=BB3_130 Depth=1
	s_mov_b32 s7, -1
	s_mov_b32 s16, exec_lo
                                        ; implicit-def: $sgpr14
	v_cmpx_eq_u16_e64 0x80, v174
; %bb.366:                              ;   in Loop: Header=BB3_130 Depth=1
	s_movk_i32 s14, 0x7c01
	s_xor_b32 s7, exec_lo, -1
; %bb.367:                              ;   in Loop: Header=BB3_130 Depth=1
	s_or_b32 exec_lo, exec_lo, s16
	s_delay_alu instid0(SALU_CYCLE_1)
	s_and_b32 s7, s7, exec_lo
	s_or_saveexec_b32 s15, s15
	v_mov_b32_e32 v172, s14
	s_xor_b32 exec_lo, exec_lo, s15
	s_cbranch_execz .LBB3_240
.LBB3_368:                              ;   in Loop: Header=BB3_130 Depth=1
	v_cmp_ne_u16_e64 vcc_lo, 0, v174
	v_mov_b32_e32 v172, 0
	s_and_not1_b32 s7, s7, exec_lo
	s_delay_alu instid0(VALU_DEP_2) | instskip(NEXT) | instid1(SALU_CYCLE_1)
	s_and_b32 s14, vcc_lo, exec_lo
	s_or_b32 s7, s7, s14
	s_or_b32 exec_lo, exec_lo, s15
	s_and_saveexec_b32 s14, s7
	s_cbranch_execnz .LBB3_241
	s_branch .LBB3_242
.LBB3_369:                              ;   in Loop: Header=BB3_130 Depth=1
	s_mov_b32 s7, -1
	s_mov_b32 s16, exec_lo
                                        ; implicit-def: $sgpr14
	v_cmpx_eq_u16_e64 0x80, v173
; %bb.370:                              ;   in Loop: Header=BB3_130 Depth=1
	s_movk_i32 s14, 0x7c01
	s_xor_b32 s7, exec_lo, -1
; %bb.371:                              ;   in Loop: Header=BB3_130 Depth=1
	s_or_b32 exec_lo, exec_lo, s16
	s_delay_alu instid0(SALU_CYCLE_1)
	s_and_b32 s7, s7, exec_lo
                                        ; implicit-def: $vgpr173
	s_or_saveexec_b32 s15, s15
	v_mov_b32_e32 v131, s14
	s_xor_b32 exec_lo, exec_lo, s15
	s_cbranch_execz .LBB3_244
.LBB3_372:                              ;   in Loop: Header=BB3_130 Depth=1
	v_cmp_ne_u16_e64 vcc_lo, 0, v173
	v_mov_b32_e32 v131, 0
	s_and_not1_b32 s7, s7, exec_lo
	s_delay_alu instid0(VALU_DEP_2) | instskip(NEXT) | instid1(SALU_CYCLE_1)
	s_and_b32 s14, vcc_lo, exec_lo
	s_or_b32 s7, s7, s14
	s_or_b32 exec_lo, exec_lo, s15
	s_and_saveexec_b32 s14, s7
	s_cbranch_execnz .LBB3_245
	s_branch .LBB3_246
.LBB3_373:                              ;   in Loop: Header=BB3_130 Depth=1
	s_mov_b32 s7, -1
	s_mov_b32 s16, exec_lo
                                        ; implicit-def: $sgpr14
	v_cmpx_eq_u16_e64 0x80, v174
; %bb.374:                              ;   in Loop: Header=BB3_130 Depth=1
	s_movk_i32 s14, 0x7c01
	s_xor_b32 s7, exec_lo, -1
; %bb.375:                              ;   in Loop: Header=BB3_130 Depth=1
	s_or_b32 exec_lo, exec_lo, s16
	s_delay_alu instid0(SALU_CYCLE_1)
	s_and_b32 s7, s7, exec_lo
                                        ; implicit-def: $vgpr174
	s_or_saveexec_b32 s15, s15
	v_mov_b32_e32 v173, s14
	s_xor_b32 exec_lo, exec_lo, s15
	s_cbranch_execz .LBB3_248
.LBB3_376:                              ;   in Loop: Header=BB3_130 Depth=1
	v_cmp_ne_u16_e64 vcc_lo, 0, v174
	v_mov_b32_e32 v173, 0
	s_and_not1_b32 s7, s7, exec_lo
	s_delay_alu instid0(VALU_DEP_2) | instskip(NEXT) | instid1(SALU_CYCLE_1)
	s_and_b32 s14, vcc_lo, exec_lo
	s_or_b32 s7, s7, s14
	s_or_b32 exec_lo, exec_lo, s15
	s_and_saveexec_b32 s14, s7
	s_cbranch_execnz .LBB3_249
	s_branch .LBB3_250
.LBB3_377:                              ;   in Loop: Header=BB3_130 Depth=1
	s_mov_b32 s7, -1
	s_mov_b32 s16, exec_lo
                                        ; implicit-def: $sgpr14
	v_cmpx_eq_u16_e64 0x80, v177
; %bb.378:                              ;   in Loop: Header=BB3_130 Depth=1
	s_movk_i32 s14, 0x7c01
	s_xor_b32 s7, exec_lo, -1
; %bb.379:                              ;   in Loop: Header=BB3_130 Depth=1
	s_or_b32 exec_lo, exec_lo, s16
	s_delay_alu instid0(SALU_CYCLE_1)
	s_and_b32 s7, s7, exec_lo
                                        ; implicit-def: $vgpr177
	s_or_saveexec_b32 s15, s15
	v_mov_b32_e32 v174, s14
	s_xor_b32 exec_lo, exec_lo, s15
	s_cbranch_execz .LBB3_252
.LBB3_380:                              ;   in Loop: Header=BB3_130 Depth=1
	v_cmp_ne_u16_e64 vcc_lo, 0, v177
	v_mov_b32_e32 v174, 0
	s_and_not1_b32 s7, s7, exec_lo
	s_delay_alu instid0(VALU_DEP_2) | instskip(NEXT) | instid1(SALU_CYCLE_1)
	s_and_b32 s14, vcc_lo, exec_lo
	s_or_b32 s7, s7, s14
	s_or_b32 exec_lo, exec_lo, s15
	s_and_saveexec_b32 s14, s7
	s_cbranch_execnz .LBB3_253
	s_branch .LBB3_254
.LBB3_381:                              ;   in Loop: Header=BB3_130 Depth=1
	s_mov_b32 s7, -1
	s_mov_b32 s16, exec_lo
                                        ; implicit-def: $sgpr14
	v_cmpx_eq_u16_e64 0x80, v177
; %bb.382:                              ;   in Loop: Header=BB3_130 Depth=1
	s_movk_i32 s14, 0x7c01
	s_xor_b32 s7, exec_lo, -1
; %bb.383:                              ;   in Loop: Header=BB3_130 Depth=1
	s_or_b32 exec_lo, exec_lo, s16
	s_delay_alu instid0(SALU_CYCLE_1)
	s_and_b32 s7, s7, exec_lo
	s_or_saveexec_b32 s15, s15
	v_mov_b32_e32 v175, s14
	s_xor_b32 exec_lo, exec_lo, s15
	s_cbranch_execz .LBB3_256
.LBB3_384:                              ;   in Loop: Header=BB3_130 Depth=1
	v_cmp_ne_u16_e64 vcc_lo, 0, v177
	v_mov_b32_e32 v175, 0
	s_and_not1_b32 s7, s7, exec_lo
	s_delay_alu instid0(VALU_DEP_2) | instskip(NEXT) | instid1(SALU_CYCLE_1)
	s_and_b32 s14, vcc_lo, exec_lo
	s_or_b32 s7, s7, s14
	s_or_b32 exec_lo, exec_lo, s15
	s_and_saveexec_b32 s14, s7
	s_cbranch_execz .LBB3_129
.LBB3_385:                              ;   in Loop: Header=BB3_130 Depth=1
	v_bfe_u32 v175, v132, 24, 3
	v_lshrrev_b32_e32 v180, 27, v132
	v_bfe_u32 v132, v132, 27, 4
	v_and_b32_e32 v176, 0x8000, v176
	s_delay_alu instid0(VALU_DEP_4) | instskip(NEXT) | instid1(VALU_DEP_1)
	v_clz_i32_u32_e32 v178, v175
	v_min_u32_e32 v178, 32, v178
	s_delay_alu instid0(VALU_DEP_1) | instskip(SKIP_1) | instid1(VALU_DEP_2)
	v_subrev_nc_u32_e32 v179, 28, v178
	v_sub_nc_u32_e32 v178, 29, v178
	v_lshlrev_b32_e32 v177, v179, v177
	v_and_b32_e32 v179, 15, v180
	s_delay_alu instid0(VALU_DEP_1) | instskip(NEXT) | instid1(VALU_DEP_3)
	v_cmp_eq_u16_e64 vcc_lo, 0, v179
	v_dual_cndmask_b32 v132, v132, v178 :: v_dual_and_b32 v177, 7, v177
	s_delay_alu instid0(VALU_DEP_1) | instskip(NEXT) | instid1(VALU_DEP_2)
	v_lshl_add_u32 v132, v132, 10, 0x1c00
	v_cndmask_b32_e32 v175, v175, v177, vcc_lo
	s_delay_alu instid0(VALU_DEP_1) | instskip(NEXT) | instid1(VALU_DEP_1)
	v_lshlrev_b32_e32 v175, 7, v175
	v_or3_b32 v175, v176, v132, v175
	s_branch .LBB3_129
.LBB3_386:
	s_waitcnt lgkmcnt(0)
	s_barrier
	ds_load_b128 v[142:145], v137
	ds_load_b128 v[146:149], v137 offset:4112
	ds_load_b128 v[150:153], v137 offset:8224
	ds_load_b128 v[154:157], v137 offset:12336
	ds_load_b128 v[158:161], v141 offset:16432
	ds_load_b128 v[162:165], v141 offset:18496
	ds_load_b128 v[166:169], v141 offset:20560
	ds_load_b128 v[170:173], v141 offset:22624
	ds_load_b128 v[174:177], v141 offset:17456
	ds_load_b128 v[178:181], v141 offset:19520
	ds_load_b128 v[182:185], v141 offset:21584
	ds_load_b128 v[186:189], v141 offset:23648
	v_lshlrev_b32_e32 v130, 5, v0
	v_and_b32_e32 v129, 0x400, v135
	v_lshrrev_b32_e32 v132, 3, v0
	v_and_b32_e32 v133, 56, v135
	s_mul_i32 s20, s20, s17
	v_and_b32_e32 v130, 0x200, v130
	s_mul_hi_u32 s0, s19, s17
	s_mov_b32 s3, 0x31004000
	v_or_b32_e32 v0, s18, v133
	s_add_i32 s0, s0, s20
	v_and_or_b32 v130, v134, 48, v130
	v_lshl_or_b32 v134, s4, 8, v132
	s_add_i32 s0, s5, s0
	s_mov_b32 s1, s13
	s_lshl_b32 s2, s0, 1
	v_or3_b32 v131, v130, v129, v136
	s_waitcnt lgkmcnt(6)
	v_wmma_f32_16x16x16_f16 v[121:128], v[142:149], v[158:165], v[121:128]
	s_waitcnt lgkmcnt(2)
	v_wmma_f32_16x16x16_f16 v[113:120], v[142:149], v[174:181], v[113:120]
	s_mov_b32 s0, s12
	s_lshl_b32 s4, s17, 5
	v_wmma_f32_16x16x16_f16 v[121:128], v[150:157], v[166:173], v[121:128]
	s_waitcnt lgkmcnt(0)
	v_wmma_f32_16x16x16_f16 v[113:120], v[150:157], v[182:189], v[113:120]
	ds_load_b128 v[138:141], v137 offset:512
	ds_load_b128 v[142:145], v137 offset:4624
	ds_load_b128 v[146:149], v137 offset:8736
	ds_load_b128 v[150:153], v137 offset:12848
	v_cvt_f16_f32_e32 v121, v121
	v_cvt_f16_f32_e32 v113, v113
	s_waitcnt lgkmcnt(2)
	v_wmma_f32_16x16x16_f16 v[97:104], v[138:145], v[158:165], v[97:104]
	v_wmma_f32_16x16x16_f16 v[105:112], v[138:145], v[174:181], v[105:112]
	s_waitcnt lgkmcnt(0)
	s_delay_alu instid0(VALU_DEP_2) | instskip(NEXT) | instid1(VALU_DEP_2)
	v_wmma_f32_16x16x16_f16 v[97:104], v[146:153], v[166:173], v[97:104]
	v_wmma_f32_16x16x16_f16 v[105:112], v[146:153], v[182:189], v[105:112]
	ds_load_b128 v[138:141], v137 offset:1024
	ds_load_b128 v[142:145], v137 offset:5136
	ds_load_b128 v[146:149], v137 offset:9248
	ds_load_b128 v[150:153], v137 offset:13360
	v_cvt_f16_f32_e32 v97, v97
	v_cvt_f16_f32_e32 v105, v105
	s_waitcnt lgkmcnt(2)
	v_wmma_f32_16x16x16_f16 v[89:96], v[138:145], v[158:165], v[89:96]
	v_wmma_f32_16x16x16_f16 v[81:88], v[138:145], v[174:181], v[81:88]
	s_waitcnt lgkmcnt(0)
	s_delay_alu instid0(VALU_DEP_2) | instskip(NEXT) | instid1(VALU_DEP_2)
	v_wmma_f32_16x16x16_f16 v[89:96], v[146:153], v[166:173], v[89:96]
	;; [unrolled: 13-line block ×6, first 2 shown]
	v_wmma_f32_16x16x16_f16 v[17:24], v[146:153], v[182:189], v[17:24]
	ds_load_b128 v[138:141], v137 offset:3584
	ds_load_b128 v[142:145], v137 offset:7696
	;; [unrolled: 1-line block ×4, first 2 shown]
	s_waitcnt lgkmcnt(0)
	s_barrier
	v_cvt_f16_f32_e32 v25, v25
	v_cvt_f16_f32_e32 v17, v17
	v_wmma_f32_16x16x16_f16 v[1:8], v[138:145], v[158:165], v[1:8]
	v_wmma_f32_16x16x16_f16 v[9:16], v[138:145], v[174:181], v[9:16]
	s_delay_alu instid0(VALU_DEP_2) | instskip(NEXT) | instid1(VALU_DEP_2)
	v_wmma_f32_16x16x16_f16 v[1:8], v[146:153], v[166:173], v[1:8]
	v_wmma_f32_16x16x16_f16 v[9:16], v[146:153], v[182:189], v[9:16]
	s_delay_alu instid0(VALU_DEP_2) | instskip(SKIP_1) | instid1(VALU_DEP_3)
	v_mad_u64_u32 v[129:130], null, v134, s17, v[0:1]
	v_lshlrev_b32_e32 v0, 1, v131
	v_cvt_f16_f32_e32 v9, v9
	v_cvt_f16_f32_e32 v1, v1
	ds_store_b16 v0, v121
	v_cvt_f16_f32_e32 v121, v122
	ds_store_b16 v0, v121 offset:128
	v_cvt_f16_f32_e32 v121, v123
	ds_store_b16 v0, v121 offset:256
	;; [unrolled: 2-line block ×4, first 2 shown]
	v_cvt_f16_f32_e32 v121, v126
	v_lshlrev_b32_e32 v126, 1, v129
	ds_store_b16 v0, v121 offset:640
	v_cvt_f16_f32_e32 v121, v127
	ds_store_b16 v0, v121 offset:768
	v_cvt_f16_f32_e64 v121, v128
	ds_store_b16 v0, v121 offset:896
	v_lshlrev_b32_e32 v121, 1, v133
	s_waitcnt lgkmcnt(0)
	s_barrier
	s_delay_alu instid0(VALU_DEP_1)
	v_lshl_or_b32 v121, v132, 7, v121
	ds_load_2addr_b64 v[122:125], v121 offset1:1
	s_waitcnt lgkmcnt(0)
	buffer_store_b128 v[122:125], v126, s[0:3], 0 offen
	s_waitcnt lgkmcnt(0)
	s_waitcnt_vscnt null, 0x0
	s_barrier
	ds_store_b16 v0, v113
	v_cvt_f16_f32_e32 v113, v114
	v_add_nc_u32_e32 v122, 64, v129
	ds_store_b16 v0, v113 offset:128
	v_cvt_f16_f32_e32 v113, v115
	ds_store_b16 v0, v113 offset:256
	v_cvt_f16_f32_e32 v113, v116
	;; [unrolled: 2-line block ×3, first 2 shown]
	v_lshlrev_b32_e32 v117, 1, v122
	ds_store_b16 v0, v113 offset:512
	v_cvt_f16_f32_e32 v113, v118
	ds_store_b16 v0, v113 offset:640
	v_cvt_f16_f32_e32 v113, v119
	;; [unrolled: 2-line block ×3, first 2 shown]
	ds_store_b16 v0, v113 offset:896
	s_waitcnt lgkmcnt(0)
	s_barrier
	ds_load_2addr_b64 v[113:116], v121 offset1:1
	s_waitcnt lgkmcnt(0)
	s_clause 0x1
	buffer_store_b64 v[113:114], v117, s[0:3], 0 offen
	buffer_store_b64 v[115:116], v126, s[0:3], 0 offen offset:136
	s_waitcnt lgkmcnt(0)
	s_waitcnt_vscnt null, 0x0
	s_barrier
	ds_store_b16 v0, v105
	v_cvt_f16_f32_e32 v105, v106
	ds_store_b16 v0, v105 offset:128
	v_cvt_f16_f32_e32 v105, v107
	ds_store_b16 v0, v105 offset:256
	;; [unrolled: 2-line block ×3, first 2 shown]
	v_cvt_f16_f32_e32 v105, v109
	v_add_lshl_u32 v109, v122, s4, 1
	ds_store_b16 v0, v105 offset:512
	v_cvt_f16_f32_e32 v105, v110
	ds_store_b16 v0, v105 offset:640
	v_cvt_f16_f32_e32 v105, v111
	ds_store_b16 v0, v105 offset:768
	v_cvt_f16_f32_e32 v105, v112
	ds_store_b16 v0, v105 offset:896
	s_waitcnt lgkmcnt(0)
	s_barrier
	ds_load_2addr_b64 v[105:108], v121 offset1:1
	s_waitcnt lgkmcnt(0)
	buffer_store_b128 v[105:108], v109, s[0:3], 0 offen
	s_waitcnt lgkmcnt(0)
	s_waitcnt_vscnt null, 0x0
	s_barrier
	ds_store_b16 v0, v97
	v_cvt_f16_f32_e32 v97, v98
	v_add_nc_u32_e32 v105, s4, v129
	ds_store_b16 v0, v97 offset:128
	v_cvt_f16_f32_e32 v97, v99
	ds_store_b16 v0, v97 offset:256
	v_cvt_f16_f32_e32 v97, v100
	ds_store_b16 v0, v97 offset:384
	v_cvt_f16_f32_e32 v97, v101
	v_lshlrev_b32_e32 v101, 1, v105
	ds_store_b16 v0, v97 offset:512
	v_cvt_f16_f32_e32 v97, v102
	ds_store_b16 v0, v97 offset:640
	v_cvt_f16_f32_e32 v97, v103
	ds_store_b16 v0, v97 offset:768
	v_cvt_f16_f32_e32 v97, v104
	ds_store_b16 v0, v97 offset:896
	s_waitcnt lgkmcnt(0)
	s_barrier
	ds_load_2addr_b64 v[97:100], v121 offset1:1
	s_waitcnt lgkmcnt(0)
	buffer_store_b128 v[97:100], v101, s[0:3], 0 offen
	s_waitcnt lgkmcnt(0)
	s_waitcnt_vscnt null, 0x0
	s_barrier
	ds_store_b16 v0, v89
	v_cvt_f16_f32_e32 v89, v90
	v_add_nc_u32_e32 v97, s4, v105
	ds_store_b16 v0, v89 offset:128
	v_cvt_f16_f32_e32 v89, v91
	ds_store_b16 v0, v89 offset:256
	v_cvt_f16_f32_e32 v89, v92
	ds_store_b16 v0, v89 offset:384
	v_cvt_f16_f32_e32 v89, v93
	v_lshlrev_b32_e32 v93, 1, v97
	;; [unrolled: 25-line block ×3, first 2 shown]
	ds_store_b16 v0, v81 offset:512
	v_cvt_f16_f32_e32 v81, v86
	ds_store_b16 v0, v81 offset:640
	v_cvt_f16_f32_e32 v81, v87
	ds_store_b16 v0, v81 offset:768
	v_cvt_f16_f32_e32 v81, v88
	ds_store_b16 v0, v81 offset:896
	s_waitcnt lgkmcnt(0)
	s_barrier
	ds_load_2addr_b64 v[81:84], v121 offset1:1
	s_waitcnt lgkmcnt(0)
	s_clause 0x1
	buffer_store_b64 v[81:82], v85, s[0:3], 0 offen
	buffer_store_b64 v[83:84], v93, s[0:3], 0 offen offset:136
	s_waitcnt lgkmcnt(0)
	s_waitcnt_vscnt null, 0x0
	s_barrier
	ds_store_b16 v0, v73
	v_cvt_f16_f32_e32 v73, v74
	ds_store_b16 v0, v73 offset:128
	v_cvt_f16_f32_e32 v73, v75
	ds_store_b16 v0, v73 offset:256
	;; [unrolled: 2-line block ×3, first 2 shown]
	v_cvt_f16_f32_e32 v73, v77
	v_add_lshl_u32 v77, v89, s4, 1
	ds_store_b16 v0, v73 offset:512
	v_cvt_f16_f32_e32 v73, v78
	ds_store_b16 v0, v73 offset:640
	v_cvt_f16_f32_e32 v73, v79
	ds_store_b16 v0, v73 offset:768
	v_cvt_f16_f32_e32 v73, v80
	ds_store_b16 v0, v73 offset:896
	s_waitcnt lgkmcnt(0)
	s_barrier
	ds_load_2addr_b64 v[73:76], v121 offset1:1
	s_waitcnt lgkmcnt(0)
	buffer_store_b128 v[73:76], v77, s[0:3], 0 offen
	s_waitcnt lgkmcnt(0)
	s_waitcnt_vscnt null, 0x0
	s_barrier
	ds_store_b16 v0, v65
	v_cvt_f16_f32_e32 v65, v66
	v_add_nc_u32_e32 v73, s4, v97
	ds_store_b16 v0, v65 offset:128
	v_cvt_f16_f32_e32 v65, v67
	ds_store_b16 v0, v65 offset:256
	v_cvt_f16_f32_e32 v65, v68
	ds_store_b16 v0, v65 offset:384
	v_cvt_f16_f32_e32 v65, v69
	v_lshlrev_b32_e32 v69, 1, v73
	ds_store_b16 v0, v65 offset:512
	v_cvt_f16_f32_e32 v65, v70
	ds_store_b16 v0, v65 offset:640
	v_cvt_f16_f32_e32 v65, v71
	ds_store_b16 v0, v65 offset:768
	v_cvt_f16_f32_e32 v65, v72
	ds_store_b16 v0, v65 offset:896
	s_waitcnt lgkmcnt(0)
	s_barrier
	ds_load_2addr_b64 v[65:68], v121 offset1:1
	s_waitcnt lgkmcnt(0)
	buffer_store_b128 v[65:68], v69, s[0:3], 0 offen
	s_waitcnt lgkmcnt(0)
	s_waitcnt_vscnt null, 0x0
	s_barrier
	ds_store_b16 v0, v57
	v_cvt_f16_f32_e32 v57, v58
	v_add_nc_u32_e32 v65, s4, v73
	ds_store_b16 v0, v57 offset:128
	v_cvt_f16_f32_e32 v57, v59
	ds_store_b16 v0, v57 offset:256
	v_cvt_f16_f32_e32 v57, v60
	ds_store_b16 v0, v57 offset:384
	v_cvt_f16_f32_e32 v57, v61
	v_lshlrev_b32_e32 v61, 1, v65
	;; [unrolled: 25-line block ×3, first 2 shown]
	ds_store_b16 v0, v49 offset:512
	v_cvt_f16_f32_e32 v49, v54
	ds_store_b16 v0, v49 offset:640
	v_cvt_f16_f32_e32 v49, v55
	;; [unrolled: 2-line block ×3, first 2 shown]
	ds_store_b16 v0, v49 offset:896
	s_waitcnt lgkmcnt(0)
	s_barrier
	ds_load_2addr_b64 v[49:52], v121 offset1:1
	s_waitcnt lgkmcnt(0)
	s_clause 0x1
	buffer_store_b64 v[49:50], v53, s[0:3], 0 offen
	buffer_store_b64 v[51:52], v61, s[0:3], 0 offen offset:136
	s_waitcnt lgkmcnt(0)
	s_waitcnt_vscnt null, 0x0
	s_barrier
	ds_store_b16 v0, v41
	v_cvt_f16_f32_e32 v41, v42
	ds_store_b16 v0, v41 offset:128
	v_cvt_f16_f32_e32 v41, v43
	ds_store_b16 v0, v41 offset:256
	;; [unrolled: 2-line block ×3, first 2 shown]
	v_cvt_f16_f32_e32 v41, v45
	v_add_lshl_u32 v45, v57, s4, 1
	ds_store_b16 v0, v41 offset:512
	v_cvt_f16_f32_e32 v41, v46
	ds_store_b16 v0, v41 offset:640
	v_cvt_f16_f32_e32 v41, v47
	ds_store_b16 v0, v41 offset:768
	v_cvt_f16_f32_e32 v41, v48
	ds_store_b16 v0, v41 offset:896
	s_waitcnt lgkmcnt(0)
	s_barrier
	ds_load_2addr_b64 v[41:44], v121 offset1:1
	s_waitcnt lgkmcnt(0)
	buffer_store_b128 v[41:44], v45, s[0:3], 0 offen
	s_waitcnt lgkmcnt(0)
	s_waitcnt_vscnt null, 0x0
	s_barrier
	ds_store_b16 v0, v33
	v_cvt_f16_f32_e32 v33, v34
	v_add_nc_u32_e32 v41, s4, v65
	ds_store_b16 v0, v33 offset:128
	v_cvt_f16_f32_e32 v33, v35
	ds_store_b16 v0, v33 offset:256
	v_cvt_f16_f32_e32 v33, v36
	ds_store_b16 v0, v33 offset:384
	v_cvt_f16_f32_e32 v33, v37
	v_lshlrev_b32_e32 v37, 1, v41
	ds_store_b16 v0, v33 offset:512
	v_cvt_f16_f32_e32 v33, v38
	ds_store_b16 v0, v33 offset:640
	v_cvt_f16_f32_e32 v33, v39
	ds_store_b16 v0, v33 offset:768
	v_cvt_f16_f32_e32 v33, v40
	ds_store_b16 v0, v33 offset:896
	s_waitcnt lgkmcnt(0)
	s_barrier
	ds_load_2addr_b64 v[33:36], v121 offset1:1
	s_waitcnt lgkmcnt(0)
	buffer_store_b128 v[33:36], v37, s[0:3], 0 offen
	s_waitcnt lgkmcnt(0)
	s_waitcnt_vscnt null, 0x0
	s_barrier
	ds_store_b16 v0, v25
	v_cvt_f16_f32_e32 v25, v26
	v_add_nc_u32_e32 v33, s4, v41
	ds_store_b16 v0, v25 offset:128
	v_cvt_f16_f32_e32 v25, v27
	ds_store_b16 v0, v25 offset:256
	v_cvt_f16_f32_e32 v25, v28
	ds_store_b16 v0, v25 offset:384
	v_cvt_f16_f32_e32 v25, v29
	v_lshlrev_b32_e32 v29, 1, v33
	ds_store_b16 v0, v25 offset:512
	v_cvt_f16_f32_e32 v25, v30
	ds_store_b16 v0, v25 offset:640
	v_cvt_f16_f32_e32 v25, v31
	ds_store_b16 v0, v25 offset:768
	v_cvt_f16_f32_e32 v25, v32
	ds_store_b16 v0, v25 offset:896
	s_waitcnt lgkmcnt(0)
	s_barrier
	ds_load_2addr_b64 v[25:28], v121 offset1:1
	s_waitcnt lgkmcnt(0)
	buffer_store_b128 v[25:28], v29, s[0:3], 0 offen
	s_waitcnt lgkmcnt(0)
	s_waitcnt_vscnt null, 0x0
	s_barrier
	ds_store_b16 v0, v17
	v_cvt_f16_f32_e32 v17, v18
	v_add_nc_u32_e32 v25, 64, v33
	ds_store_b16 v0, v17 offset:128
	v_cvt_f16_f32_e32 v17, v19
	ds_store_b16 v0, v17 offset:256
	v_cvt_f16_f32_e32 v17, v20
	ds_store_b16 v0, v17 offset:384
	v_cvt_f16_f32_e32 v17, v21
	v_lshlrev_b32_e32 v21, 1, v25
	ds_store_b16 v0, v17 offset:512
	v_cvt_f16_f32_e32 v17, v22
	ds_store_b16 v0, v17 offset:640
	v_cvt_f16_f32_e32 v17, v23
	;; [unrolled: 2-line block ×3, first 2 shown]
	ds_store_b16 v0, v17 offset:896
	s_waitcnt lgkmcnt(0)
	s_barrier
	ds_load_2addr_b64 v[17:20], v121 offset1:1
	s_waitcnt lgkmcnt(0)
	s_clause 0x1
	buffer_store_b64 v[17:18], v21, s[0:3], 0 offen
	buffer_store_b64 v[19:20], v29, s[0:3], 0 offen offset:136
	s_waitcnt lgkmcnt(0)
	s_waitcnt_vscnt null, 0x0
	s_barrier
	ds_store_b16 v0, v9
	v_cvt_f16_f32_e32 v9, v10
	ds_store_b16 v0, v9 offset:128
	v_cvt_f16_f32_e32 v9, v11
	ds_store_b16 v0, v9 offset:256
	;; [unrolled: 2-line block ×3, first 2 shown]
	v_cvt_f16_f32_e32 v9, v13
	v_add_lshl_u32 v13, v25, s4, 1
	ds_store_b16 v0, v9 offset:512
	v_cvt_f16_f32_e32 v9, v14
	ds_store_b16 v0, v9 offset:640
	v_cvt_f16_f32_e32 v9, v15
	;; [unrolled: 2-line block ×3, first 2 shown]
	ds_store_b16 v0, v9 offset:896
	s_waitcnt lgkmcnt(0)
	s_barrier
	ds_load_2addr_b64 v[9:12], v121 offset1:1
	s_waitcnt lgkmcnt(0)
	buffer_store_b128 v[9:12], v13, s[0:3], 0 offen
	s_waitcnt lgkmcnt(0)
	s_waitcnt_vscnt null, 0x0
	s_barrier
	ds_store_b16 v0, v1
	v_cvt_f16_f32_e32 v1, v2
	ds_store_b16 v0, v1 offset:128
	v_cvt_f16_f32_e32 v1, v3
	ds_store_b16 v0, v1 offset:256
	v_cvt_f16_f32_e32 v1, v4
	v_add_lshl_u32 v4, v33, s4, 1
	ds_store_b16 v0, v1 offset:384
	v_cvt_f16_f32_e32 v1, v5
	ds_store_b16 v0, v1 offset:512
	v_cvt_f16_f32_e32 v1, v6
	;; [unrolled: 2-line block ×4, first 2 shown]
	ds_store_b16 v0, v1 offset:896
	s_waitcnt lgkmcnt(0)
	s_barrier
	ds_load_2addr_b64 v[0:3], v121 offset1:1
	s_waitcnt lgkmcnt(0)
	buffer_store_b128 v[0:3], v4, s[0:3], 0 offen
	s_nop 0
	s_sendmsg sendmsg(MSG_DEALLOC_VGPRS)
	s_endpgm
.LBB3_387:
	s_mov_b32 s0, -1
	s_mov_b32 s3, exec_lo
                                        ; implicit-def: $sgpr1
	v_cmpx_eq_u16_e32 0x80, v7
; %bb.388:
	s_movk_i32 s1, 0x7c01
	s_xor_b32 s0, exec_lo, -1
; %bb.389:
	s_or_b32 exec_lo, exec_lo, s3
	s_delay_alu instid0(SALU_CYCLE_1)
	s_and_b32 s0, s0, exec_lo
                                        ; implicit-def: $vgpr7
	s_or_saveexec_b32 s2, s2
	v_mov_b32_e32 v6, s1
	s_xor_b32 exec_lo, exec_lo, s2
	s_cbranch_execz .LBB3_2
.LBB3_390:
	v_cmp_ne_u16_e32 vcc_lo, 0, v7
	v_mov_b32_e32 v6, v7
	s_and_not1_b32 s0, s0, exec_lo
	s_and_b32 s1, vcc_lo, exec_lo
	s_delay_alu instid0(SALU_CYCLE_1)
	s_or_b32 s0, s0, s1
	s_or_b32 exec_lo, exec_lo, s2
	s_and_saveexec_b32 s1, s0
	s_cbranch_execnz .LBB3_3
	s_branch .LBB3_4
.LBB3_391:
	s_mov_b32 s0, -1
	s_mov_b32 s3, exec_lo
                                        ; implicit-def: $sgpr1
	v_cmpx_eq_u16_e32 0x80, v8
; %bb.392:
	s_movk_i32 s1, 0x7c01
	s_xor_b32 s0, exec_lo, -1
; %bb.393:
	s_or_b32 exec_lo, exec_lo, s3
	s_delay_alu instid0(SALU_CYCLE_1)
	s_and_b32 s0, s0, exec_lo
                                        ; implicit-def: $vgpr8
	s_or_saveexec_b32 s2, s2
	v_mov_b32_e32 v7, s1
	s_xor_b32 exec_lo, exec_lo, s2
	s_cbranch_execz .LBB3_6
.LBB3_394:
	v_cmp_ne_u16_e32 vcc_lo, 0, v8
	v_mov_b32_e32 v7, 0
	s_and_not1_b32 s0, s0, exec_lo
	s_and_b32 s1, vcc_lo, exec_lo
	s_delay_alu instid0(SALU_CYCLE_1)
	s_or_b32 s0, s0, s1
	s_or_b32 exec_lo, exec_lo, s2
	s_and_saveexec_b32 s1, s0
	s_cbranch_execnz .LBB3_7
	s_branch .LBB3_8
.LBB3_395:
	s_mov_b32 s0, -1
	s_mov_b32 s3, exec_lo
                                        ; implicit-def: $sgpr1
	v_cmpx_eq_u16_e32 0x80, v11
; %bb.396:
	s_movk_i32 s1, 0x7c01
	s_xor_b32 s0, exec_lo, -1
; %bb.397:
	s_or_b32 exec_lo, exec_lo, s3
	s_delay_alu instid0(SALU_CYCLE_1)
	s_and_b32 s0, s0, exec_lo
                                        ; implicit-def: $vgpr11
	s_or_saveexec_b32 s2, s2
	v_mov_b32_e32 v8, s1
	s_xor_b32 exec_lo, exec_lo, s2
	s_cbranch_execz .LBB3_10
.LBB3_398:
	v_cmp_ne_u16_e32 vcc_lo, 0, v11
	v_mov_b32_e32 v8, 0
	s_and_not1_b32 s0, s0, exec_lo
	s_and_b32 s1, vcc_lo, exec_lo
	s_delay_alu instid0(SALU_CYCLE_1)
	s_or_b32 s0, s0, s1
	s_or_b32 exec_lo, exec_lo, s2
	s_and_saveexec_b32 s1, s0
	s_cbranch_execnz .LBB3_11
	s_branch .LBB3_12
.LBB3_399:
	s_mov_b32 s0, -1
	s_mov_b32 s3, exec_lo
                                        ; implicit-def: $sgpr1
	v_cmpx_eq_u16_e32 0x80, v11
; %bb.400:
	s_movk_i32 s1, 0x7c01
	s_xor_b32 s0, exec_lo, -1
; %bb.401:
	s_or_b32 exec_lo, exec_lo, s3
	s_delay_alu instid0(SALU_CYCLE_1)
	s_and_b32 s0, s0, exec_lo
	s_or_saveexec_b32 s2, s2
	v_mov_b32_e32 v9, s1
	s_xor_b32 exec_lo, exec_lo, s2
	s_cbranch_execz .LBB3_14
.LBB3_402:
	v_cmp_ne_u16_e32 vcc_lo, 0, v11
	v_mov_b32_e32 v9, 0
	s_and_not1_b32 s0, s0, exec_lo
	s_and_b32 s1, vcc_lo, exec_lo
	s_delay_alu instid0(SALU_CYCLE_1)
	s_or_b32 s0, s0, s1
	s_or_b32 exec_lo, exec_lo, s2
	s_and_saveexec_b32 s1, s0
	s_cbranch_execnz .LBB3_15
	s_branch .LBB3_16
.LBB3_403:
	s_mov_b32 s0, -1
	s_mov_b32 s3, exec_lo
                                        ; implicit-def: $sgpr1
	v_cmpx_eq_u16_e32 0x80, v1
; %bb.404:
	s_movk_i32 s1, 0x7c01
	s_xor_b32 s0, exec_lo, -1
; %bb.405:
	s_or_b32 exec_lo, exec_lo, s3
	s_delay_alu instid0(SALU_CYCLE_1)
	s_and_b32 s0, s0, exec_lo
                                        ; implicit-def: $vgpr1
	s_or_saveexec_b32 s2, s2
	v_mov_b32_e32 v10, s1
	s_xor_b32 exec_lo, exec_lo, s2
	s_cbranch_execz .LBB3_18
.LBB3_406:
	v_cmp_ne_u16_e32 vcc_lo, 0, v1
	v_mov_b32_e32 v10, 0
	s_and_not1_b32 s0, s0, exec_lo
	s_and_b32 s1, vcc_lo, exec_lo
	s_delay_alu instid0(SALU_CYCLE_1)
	s_or_b32 s0, s0, s1
	s_or_b32 exec_lo, exec_lo, s2
	s_and_saveexec_b32 s1, s0
	s_cbranch_execnz .LBB3_19
	s_branch .LBB3_20
.LBB3_407:
	s_mov_b32 s0, -1
	s_mov_b32 s3, exec_lo
                                        ; implicit-def: $sgpr1
	v_cmpx_eq_u16_e32 0x80, v12
; %bb.408:
	s_movk_i32 s1, 0x7c01
	s_xor_b32 s0, exec_lo, -1
; %bb.409:
	s_or_b32 exec_lo, exec_lo, s3
	s_delay_alu instid0(SALU_CYCLE_1)
	s_and_b32 s0, s0, exec_lo
                                        ; implicit-def: $vgpr12
	s_or_saveexec_b32 s2, s2
	v_mov_b32_e32 v11, s1
	s_xor_b32 exec_lo, exec_lo, s2
	s_cbranch_execz .LBB3_22
.LBB3_410:
	v_cmp_ne_u16_e32 vcc_lo, 0, v12
	v_mov_b32_e32 v11, 0
	s_and_not1_b32 s0, s0, exec_lo
	s_and_b32 s1, vcc_lo, exec_lo
	s_delay_alu instid0(SALU_CYCLE_1)
	s_or_b32 s0, s0, s1
	s_or_b32 exec_lo, exec_lo, s2
	s_and_saveexec_b32 s1, s0
	s_cbranch_execnz .LBB3_23
	s_branch .LBB3_24
.LBB3_411:
	s_mov_b32 s0, -1
	s_mov_b32 s3, exec_lo
                                        ; implicit-def: $sgpr1
	v_cmpx_eq_u16_e32 0x80, v13
; %bb.412:
	s_movk_i32 s1, 0x7c01
	s_xor_b32 s0, exec_lo, -1
; %bb.413:
	s_or_b32 exec_lo, exec_lo, s3
	s_delay_alu instid0(SALU_CYCLE_1)
	s_and_b32 s0, s0, exec_lo
                                        ; implicit-def: $vgpr13
	s_or_saveexec_b32 s2, s2
	v_mov_b32_e32 v12, s1
	s_xor_b32 exec_lo, exec_lo, s2
	s_cbranch_execz .LBB3_26
.LBB3_414:
	v_cmp_ne_u16_e32 vcc_lo, 0, v13
	v_mov_b32_e32 v12, 0
	s_and_not1_b32 s0, s0, exec_lo
	s_and_b32 s1, vcc_lo, exec_lo
	s_delay_alu instid0(SALU_CYCLE_1)
	s_or_b32 s0, s0, s1
	s_or_b32 exec_lo, exec_lo, s2
	s_and_saveexec_b32 s1, s0
	s_cbranch_execnz .LBB3_27
	s_branch .LBB3_28
.LBB3_415:
	s_mov_b32 s0, -1
	s_mov_b32 s3, exec_lo
                                        ; implicit-def: $sgpr1
	v_cmpx_eq_u16_e32 0x80, v1
; %bb.416:
	s_movk_i32 s1, 0x7c01
	s_xor_b32 s0, exec_lo, -1
; %bb.417:
	s_or_b32 exec_lo, exec_lo, s3
	s_delay_alu instid0(SALU_CYCLE_1)
	s_and_b32 s0, s0, exec_lo
	s_or_saveexec_b32 s2, s2
	v_mov_b32_e32 v13, s1
	s_xor_b32 exec_lo, exec_lo, s2
	s_cbranch_execz .LBB3_30
.LBB3_418:
	v_cmp_ne_u16_e32 vcc_lo, 0, v1
	v_mov_b32_e32 v13, 0
	s_and_not1_b32 s0, s0, exec_lo
	s_and_b32 s1, vcc_lo, exec_lo
	s_delay_alu instid0(SALU_CYCLE_1)
	s_or_b32 s0, s0, s1
	s_or_b32 exec_lo, exec_lo, s2
	s_and_saveexec_b32 s1, s0
	s_cbranch_execnz .LBB3_31
	s_branch .LBB3_32
.LBB3_419:
	s_mov_b32 s0, -1
	s_mov_b32 s3, exec_lo
                                        ; implicit-def: $sgpr1
	v_cmpx_eq_u16_e32 0x80, v15
; %bb.420:
	s_movk_i32 s1, 0x7c01
	s_xor_b32 s0, exec_lo, -1
; %bb.421:
	s_or_b32 exec_lo, exec_lo, s3
	s_delay_alu instid0(SALU_CYCLE_1)
	s_and_b32 s0, s0, exec_lo
                                        ; implicit-def: $vgpr15
	s_or_saveexec_b32 s2, s2
	v_mov_b32_e32 v14, s1
	s_xor_b32 exec_lo, exec_lo, s2
	s_cbranch_execz .LBB3_34
.LBB3_422:
	v_cmp_ne_u16_e32 vcc_lo, 0, v15
	v_mov_b32_e32 v14, v15
	s_and_not1_b32 s0, s0, exec_lo
	s_and_b32 s1, vcc_lo, exec_lo
	s_delay_alu instid0(SALU_CYCLE_1)
	s_or_b32 s0, s0, s1
	s_or_b32 exec_lo, exec_lo, s2
	s_and_saveexec_b32 s1, s0
	s_cbranch_execnz .LBB3_35
	s_branch .LBB3_36
.LBB3_423:
	s_mov_b32 s0, -1
	s_mov_b32 s3, exec_lo
                                        ; implicit-def: $sgpr1
	v_cmpx_eq_u16_e32 0x80, v16
; %bb.424:
	s_movk_i32 s1, 0x7c01
	s_xor_b32 s0, exec_lo, -1
; %bb.425:
	s_or_b32 exec_lo, exec_lo, s3
	s_delay_alu instid0(SALU_CYCLE_1)
	s_and_b32 s0, s0, exec_lo
                                        ; implicit-def: $vgpr16
	s_or_saveexec_b32 s2, s2
	v_mov_b32_e32 v15, s1
	s_xor_b32 exec_lo, exec_lo, s2
	s_cbranch_execz .LBB3_38
.LBB3_426:
	v_cmp_ne_u16_e32 vcc_lo, 0, v16
	v_mov_b32_e32 v15, 0
	s_and_not1_b32 s0, s0, exec_lo
	s_and_b32 s1, vcc_lo, exec_lo
	s_delay_alu instid0(SALU_CYCLE_1)
	s_or_b32 s0, s0, s1
	s_or_b32 exec_lo, exec_lo, s2
	s_and_saveexec_b32 s1, s0
	s_cbranch_execnz .LBB3_39
	s_branch .LBB3_40
.LBB3_427:
	s_mov_b32 s0, -1
	s_mov_b32 s3, exec_lo
                                        ; implicit-def: $sgpr1
	v_cmpx_eq_u16_e32 0x80, v19
; %bb.428:
	s_movk_i32 s1, 0x7c01
	s_xor_b32 s0, exec_lo, -1
; %bb.429:
	s_or_b32 exec_lo, exec_lo, s3
	s_delay_alu instid0(SALU_CYCLE_1)
	s_and_b32 s0, s0, exec_lo
                                        ; implicit-def: $vgpr19
	s_or_saveexec_b32 s2, s2
	v_mov_b32_e32 v16, s1
	s_xor_b32 exec_lo, exec_lo, s2
	s_cbranch_execz .LBB3_42
.LBB3_430:
	v_cmp_ne_u16_e32 vcc_lo, 0, v19
	v_mov_b32_e32 v16, 0
	s_and_not1_b32 s0, s0, exec_lo
	s_and_b32 s1, vcc_lo, exec_lo
	s_delay_alu instid0(SALU_CYCLE_1)
	s_or_b32 s0, s0, s1
	s_or_b32 exec_lo, exec_lo, s2
	s_and_saveexec_b32 s1, s0
	s_cbranch_execnz .LBB3_43
	s_branch .LBB3_44
.LBB3_431:
	s_mov_b32 s0, -1
	s_mov_b32 s3, exec_lo
                                        ; implicit-def: $sgpr1
	v_cmpx_eq_u16_e32 0x80, v19
; %bb.432:
	s_movk_i32 s1, 0x7c01
	s_xor_b32 s0, exec_lo, -1
; %bb.433:
	s_or_b32 exec_lo, exec_lo, s3
	s_delay_alu instid0(SALU_CYCLE_1)
	s_and_b32 s0, s0, exec_lo
	s_or_saveexec_b32 s2, s2
	v_mov_b32_e32 v17, s1
	s_xor_b32 exec_lo, exec_lo, s2
	s_cbranch_execz .LBB3_46
.LBB3_434:
	v_cmp_ne_u16_e32 vcc_lo, 0, v19
	v_mov_b32_e32 v17, 0
	s_and_not1_b32 s0, s0, exec_lo
	s_and_b32 s1, vcc_lo, exec_lo
	s_delay_alu instid0(SALU_CYCLE_1)
	s_or_b32 s0, s0, s1
	s_or_b32 exec_lo, exec_lo, s2
	s_and_saveexec_b32 s1, s0
	s_cbranch_execnz .LBB3_47
	s_branch .LBB3_48
.LBB3_435:
	s_mov_b32 s0, -1
	s_mov_b32 s3, exec_lo
                                        ; implicit-def: $sgpr1
	v_cmpx_eq_u16_e32 0x80, v1
; %bb.436:
	s_movk_i32 s1, 0x7c01
	s_xor_b32 s0, exec_lo, -1
; %bb.437:
	s_or_b32 exec_lo, exec_lo, s3
	s_delay_alu instid0(SALU_CYCLE_1)
	s_and_b32 s0, s0, exec_lo
                                        ; implicit-def: $vgpr1
	s_or_saveexec_b32 s2, s2
	v_mov_b32_e32 v18, s1
	s_xor_b32 exec_lo, exec_lo, s2
	s_cbranch_execz .LBB3_50
.LBB3_438:
	v_cmp_ne_u16_e32 vcc_lo, 0, v1
	v_mov_b32_e32 v18, 0
	s_and_not1_b32 s0, s0, exec_lo
	s_and_b32 s1, vcc_lo, exec_lo
	s_delay_alu instid0(SALU_CYCLE_1)
	s_or_b32 s0, s0, s1
	s_or_b32 exec_lo, exec_lo, s2
	s_and_saveexec_b32 s1, s0
	s_cbranch_execnz .LBB3_51
	s_branch .LBB3_52
.LBB3_439:
	s_mov_b32 s0, -1
	s_mov_b32 s3, exec_lo
                                        ; implicit-def: $sgpr1
	v_cmpx_eq_u16_e32 0x80, v20
; %bb.440:
	s_movk_i32 s1, 0x7c01
	s_xor_b32 s0, exec_lo, -1
; %bb.441:
	s_or_b32 exec_lo, exec_lo, s3
	s_delay_alu instid0(SALU_CYCLE_1)
	s_and_b32 s0, s0, exec_lo
                                        ; implicit-def: $vgpr20
	s_or_saveexec_b32 s2, s2
	v_mov_b32_e32 v19, s1
	s_xor_b32 exec_lo, exec_lo, s2
	s_cbranch_execz .LBB3_54
.LBB3_442:
	v_cmp_ne_u16_e32 vcc_lo, 0, v20
	v_mov_b32_e32 v19, 0
	s_and_not1_b32 s0, s0, exec_lo
	s_and_b32 s1, vcc_lo, exec_lo
	s_delay_alu instid0(SALU_CYCLE_1)
	s_or_b32 s0, s0, s1
	s_or_b32 exec_lo, exec_lo, s2
	s_and_saveexec_b32 s1, s0
	s_cbranch_execnz .LBB3_55
	s_branch .LBB3_56
.LBB3_443:
	s_mov_b32 s0, -1
	s_mov_b32 s3, exec_lo
                                        ; implicit-def: $sgpr1
	v_cmpx_eq_u16_e32 0x80, v21
; %bb.444:
	s_movk_i32 s1, 0x7c01
	s_xor_b32 s0, exec_lo, -1
; %bb.445:
	s_or_b32 exec_lo, exec_lo, s3
	s_delay_alu instid0(SALU_CYCLE_1)
	s_and_b32 s0, s0, exec_lo
                                        ; implicit-def: $vgpr21
	s_or_saveexec_b32 s2, s2
	v_mov_b32_e32 v20, s1
	s_xor_b32 exec_lo, exec_lo, s2
	s_cbranch_execz .LBB3_58
.LBB3_446:
	v_cmp_ne_u16_e32 vcc_lo, 0, v21
	v_mov_b32_e32 v20, 0
	s_and_not1_b32 s0, s0, exec_lo
	s_and_b32 s1, vcc_lo, exec_lo
	s_delay_alu instid0(SALU_CYCLE_1)
	s_or_b32 s0, s0, s1
	s_or_b32 exec_lo, exec_lo, s2
	s_and_saveexec_b32 s1, s0
	s_cbranch_execnz .LBB3_59
	s_branch .LBB3_60
.LBB3_447:
	s_mov_b32 s0, -1
	s_mov_b32 s3, exec_lo
                                        ; implicit-def: $sgpr1
	v_cmpx_eq_u16_e32 0x80, v1
; %bb.448:
	s_movk_i32 s1, 0x7c01
	s_xor_b32 s0, exec_lo, -1
; %bb.449:
	s_or_b32 exec_lo, exec_lo, s3
	s_delay_alu instid0(SALU_CYCLE_1)
	s_and_b32 s0, s0, exec_lo
	s_or_saveexec_b32 s2, s2
	v_mov_b32_e32 v21, s1
	s_xor_b32 exec_lo, exec_lo, s2
	s_cbranch_execz .LBB3_62
.LBB3_450:
	v_cmp_ne_u16_e32 vcc_lo, 0, v1
	v_mov_b32_e32 v21, 0
	s_and_not1_b32 s0, s0, exec_lo
	s_and_b32 s1, vcc_lo, exec_lo
	s_delay_alu instid0(SALU_CYCLE_1)
	s_or_b32 s0, s0, s1
	s_or_b32 exec_lo, exec_lo, s2
	s_and_saveexec_b32 s1, s0
	s_cbranch_execnz .LBB3_63
	s_branch .LBB3_64
.LBB3_451:
	s_mov_b32 s0, -1
	s_mov_b32 s3, exec_lo
                                        ; implicit-def: $sgpr1
	v_cmpx_eq_u16_e32 0x80, v23
; %bb.452:
	s_movk_i32 s1, 0x7c01
	s_xor_b32 s0, exec_lo, -1
; %bb.453:
	s_or_b32 exec_lo, exec_lo, s3
	s_delay_alu instid0(SALU_CYCLE_1)
	s_and_b32 s0, s0, exec_lo
                                        ; implicit-def: $vgpr23
	s_or_saveexec_b32 s2, s2
	v_mov_b32_e32 v22, s1
	s_xor_b32 exec_lo, exec_lo, s2
	s_cbranch_execz .LBB3_66
.LBB3_454:
	v_cmp_ne_u16_e32 vcc_lo, 0, v23
	v_mov_b32_e32 v22, v23
	s_and_not1_b32 s0, s0, exec_lo
	s_and_b32 s1, vcc_lo, exec_lo
	s_delay_alu instid0(SALU_CYCLE_1)
	s_or_b32 s0, s0, s1
	s_or_b32 exec_lo, exec_lo, s2
	s_and_saveexec_b32 s1, s0
	s_cbranch_execnz .LBB3_67
	s_branch .LBB3_68
.LBB3_455:
	s_mov_b32 s0, -1
	s_mov_b32 s3, exec_lo
                                        ; implicit-def: $sgpr1
	v_cmpx_eq_u16_e32 0x80, v24
; %bb.456:
	s_movk_i32 s1, 0x7c01
	s_xor_b32 s0, exec_lo, -1
; %bb.457:
	s_or_b32 exec_lo, exec_lo, s3
	s_delay_alu instid0(SALU_CYCLE_1)
	s_and_b32 s0, s0, exec_lo
                                        ; implicit-def: $vgpr24
	s_or_saveexec_b32 s2, s2
	v_mov_b32_e32 v23, s1
	s_xor_b32 exec_lo, exec_lo, s2
	s_cbranch_execz .LBB3_70
.LBB3_458:
	v_cmp_ne_u16_e32 vcc_lo, 0, v24
	v_mov_b32_e32 v23, 0
	s_and_not1_b32 s0, s0, exec_lo
	s_and_b32 s1, vcc_lo, exec_lo
	s_delay_alu instid0(SALU_CYCLE_1)
	s_or_b32 s0, s0, s1
	s_or_b32 exec_lo, exec_lo, s2
	s_and_saveexec_b32 s1, s0
	s_cbranch_execnz .LBB3_71
	s_branch .LBB3_72
.LBB3_459:
	s_mov_b32 s0, -1
	s_mov_b32 s3, exec_lo
                                        ; implicit-def: $sgpr1
	v_cmpx_eq_u16_e32 0x80, v27
; %bb.460:
	s_movk_i32 s1, 0x7c01
	s_xor_b32 s0, exec_lo, -1
; %bb.461:
	s_or_b32 exec_lo, exec_lo, s3
	s_delay_alu instid0(SALU_CYCLE_1)
	s_and_b32 s0, s0, exec_lo
                                        ; implicit-def: $vgpr27
	s_or_saveexec_b32 s2, s2
	v_mov_b32_e32 v24, s1
	s_xor_b32 exec_lo, exec_lo, s2
	s_cbranch_execz .LBB3_74
.LBB3_462:
	v_cmp_ne_u16_e32 vcc_lo, 0, v27
	v_mov_b32_e32 v24, 0
	s_and_not1_b32 s0, s0, exec_lo
	s_and_b32 s1, vcc_lo, exec_lo
	s_delay_alu instid0(SALU_CYCLE_1)
	s_or_b32 s0, s0, s1
	s_or_b32 exec_lo, exec_lo, s2
	s_and_saveexec_b32 s1, s0
	s_cbranch_execnz .LBB3_75
	s_branch .LBB3_76
.LBB3_463:
	s_mov_b32 s0, -1
	s_mov_b32 s3, exec_lo
                                        ; implicit-def: $sgpr1
	v_cmpx_eq_u16_e32 0x80, v27
; %bb.464:
	s_movk_i32 s1, 0x7c01
	s_xor_b32 s0, exec_lo, -1
; %bb.465:
	s_or_b32 exec_lo, exec_lo, s3
	s_delay_alu instid0(SALU_CYCLE_1)
	s_and_b32 s0, s0, exec_lo
	s_or_saveexec_b32 s2, s2
	v_mov_b32_e32 v25, s1
	s_xor_b32 exec_lo, exec_lo, s2
	s_cbranch_execz .LBB3_78
.LBB3_466:
	v_cmp_ne_u16_e32 vcc_lo, 0, v27
	v_mov_b32_e32 v25, 0
	s_and_not1_b32 s0, s0, exec_lo
	s_and_b32 s1, vcc_lo, exec_lo
	s_delay_alu instid0(SALU_CYCLE_1)
	s_or_b32 s0, s0, s1
	s_or_b32 exec_lo, exec_lo, s2
	s_and_saveexec_b32 s1, s0
	s_cbranch_execnz .LBB3_79
	s_branch .LBB3_80
.LBB3_467:
	s_mov_b32 s0, -1
	s_mov_b32 s3, exec_lo
                                        ; implicit-def: $sgpr1
	v_cmpx_eq_u16_e32 0x80, v1
; %bb.468:
	s_movk_i32 s1, 0x7c01
	s_xor_b32 s0, exec_lo, -1
; %bb.469:
	s_or_b32 exec_lo, exec_lo, s3
	s_delay_alu instid0(SALU_CYCLE_1)
	s_and_b32 s0, s0, exec_lo
                                        ; implicit-def: $vgpr1
	s_or_saveexec_b32 s2, s2
	v_mov_b32_e32 v26, s1
	s_xor_b32 exec_lo, exec_lo, s2
	s_cbranch_execz .LBB3_82
.LBB3_470:
	v_cmp_ne_u16_e32 vcc_lo, 0, v1
	v_mov_b32_e32 v26, 0
	s_and_not1_b32 s0, s0, exec_lo
	s_and_b32 s1, vcc_lo, exec_lo
	s_delay_alu instid0(SALU_CYCLE_1)
	s_or_b32 s0, s0, s1
	s_or_b32 exec_lo, exec_lo, s2
	s_and_saveexec_b32 s1, s0
	s_cbranch_execnz .LBB3_83
	s_branch .LBB3_84
.LBB3_471:
	s_mov_b32 s0, -1
	s_mov_b32 s3, exec_lo
                                        ; implicit-def: $sgpr1
	v_cmpx_eq_u16_e32 0x80, v28
; %bb.472:
	s_movk_i32 s1, 0x7c01
	s_xor_b32 s0, exec_lo, -1
; %bb.473:
	s_or_b32 exec_lo, exec_lo, s3
	s_delay_alu instid0(SALU_CYCLE_1)
	s_and_b32 s0, s0, exec_lo
                                        ; implicit-def: $vgpr28
	s_or_saveexec_b32 s2, s2
	v_mov_b32_e32 v27, s1
	s_xor_b32 exec_lo, exec_lo, s2
	s_cbranch_execz .LBB3_86
.LBB3_474:
	v_cmp_ne_u16_e32 vcc_lo, 0, v28
	v_mov_b32_e32 v27, 0
	s_and_not1_b32 s0, s0, exec_lo
	s_and_b32 s1, vcc_lo, exec_lo
	s_delay_alu instid0(SALU_CYCLE_1)
	s_or_b32 s0, s0, s1
	s_or_b32 exec_lo, exec_lo, s2
	s_and_saveexec_b32 s1, s0
	s_cbranch_execnz .LBB3_87
	s_branch .LBB3_88
.LBB3_475:
	s_mov_b32 s0, -1
	s_mov_b32 s3, exec_lo
                                        ; implicit-def: $sgpr1
	v_cmpx_eq_u16_e32 0x80, v29
; %bb.476:
	s_movk_i32 s1, 0x7c01
	s_xor_b32 s0, exec_lo, -1
; %bb.477:
	s_or_b32 exec_lo, exec_lo, s3
	s_delay_alu instid0(SALU_CYCLE_1)
	s_and_b32 s0, s0, exec_lo
                                        ; implicit-def: $vgpr29
	s_or_saveexec_b32 s2, s2
	v_mov_b32_e32 v28, s1
	s_xor_b32 exec_lo, exec_lo, s2
	s_cbranch_execz .LBB3_90
.LBB3_478:
	v_cmp_ne_u16_e32 vcc_lo, 0, v29
	v_mov_b32_e32 v28, 0
	s_and_not1_b32 s0, s0, exec_lo
	s_and_b32 s1, vcc_lo, exec_lo
	s_delay_alu instid0(SALU_CYCLE_1)
	s_or_b32 s0, s0, s1
	s_or_b32 exec_lo, exec_lo, s2
	s_and_saveexec_b32 s1, s0
	s_cbranch_execnz .LBB3_91
	s_branch .LBB3_92
.LBB3_479:
	s_mov_b32 s0, -1
	s_mov_b32 s3, exec_lo
                                        ; implicit-def: $sgpr1
	v_cmpx_eq_u16_e32 0x80, v1
; %bb.480:
	s_movk_i32 s1, 0x7c01
	s_xor_b32 s0, exec_lo, -1
; %bb.481:
	s_or_b32 exec_lo, exec_lo, s3
	s_delay_alu instid0(SALU_CYCLE_1)
	s_and_b32 s0, s0, exec_lo
	s_or_saveexec_b32 s2, s2
	v_mov_b32_e32 v29, s1
	s_xor_b32 exec_lo, exec_lo, s2
	s_cbranch_execz .LBB3_94
.LBB3_482:
	v_cmp_ne_u16_e32 vcc_lo, 0, v1
	v_mov_b32_e32 v29, 0
	s_and_not1_b32 s0, s0, exec_lo
	s_and_b32 s1, vcc_lo, exec_lo
	s_delay_alu instid0(SALU_CYCLE_1)
	s_or_b32 s0, s0, s1
	s_or_b32 exec_lo, exec_lo, s2
	s_and_saveexec_b32 s1, s0
	s_cbranch_execnz .LBB3_95
	s_branch .LBB3_96
.LBB3_483:
	s_mov_b32 s0, -1
	s_mov_b32 s3, exec_lo
                                        ; implicit-def: $sgpr1
	v_cmpx_eq_u16_e32 0x80, v31
; %bb.484:
	s_movk_i32 s1, 0x7c01
	s_xor_b32 s0, exec_lo, -1
; %bb.485:
	s_or_b32 exec_lo, exec_lo, s3
	s_delay_alu instid0(SALU_CYCLE_1)
	s_and_b32 s0, s0, exec_lo
                                        ; implicit-def: $vgpr31
	s_or_saveexec_b32 s2, s2
	v_mov_b32_e32 v30, s1
	s_xor_b32 exec_lo, exec_lo, s2
	s_cbranch_execz .LBB3_98
.LBB3_486:
	v_cmp_ne_u16_e32 vcc_lo, 0, v31
	v_mov_b32_e32 v30, v31
	s_and_not1_b32 s0, s0, exec_lo
	s_and_b32 s1, vcc_lo, exec_lo
	s_delay_alu instid0(SALU_CYCLE_1)
	s_or_b32 s0, s0, s1
	s_or_b32 exec_lo, exec_lo, s2
	s_and_saveexec_b32 s1, s0
	s_cbranch_execnz .LBB3_99
	s_branch .LBB3_100
.LBB3_487:
	s_mov_b32 s0, -1
	s_mov_b32 s3, exec_lo
                                        ; implicit-def: $sgpr1
	v_cmpx_eq_u16_e32 0x80, v32
; %bb.488:
	s_movk_i32 s1, 0x7c01
	s_xor_b32 s0, exec_lo, -1
; %bb.489:
	s_or_b32 exec_lo, exec_lo, s3
	s_delay_alu instid0(SALU_CYCLE_1)
	s_and_b32 s0, s0, exec_lo
                                        ; implicit-def: $vgpr32
	s_or_saveexec_b32 s2, s2
	v_mov_b32_e32 v31, s1
	s_xor_b32 exec_lo, exec_lo, s2
	s_cbranch_execz .LBB3_102
.LBB3_490:
	v_cmp_ne_u16_e32 vcc_lo, 0, v32
	v_mov_b32_e32 v31, 0
	s_and_not1_b32 s0, s0, exec_lo
	s_and_b32 s1, vcc_lo, exec_lo
	s_delay_alu instid0(SALU_CYCLE_1)
	s_or_b32 s0, s0, s1
	s_or_b32 exec_lo, exec_lo, s2
	s_and_saveexec_b32 s1, s0
	s_cbranch_execnz .LBB3_103
	s_branch .LBB3_104
.LBB3_491:
	s_mov_b32 s0, -1
	s_mov_b32 s3, exec_lo
                                        ; implicit-def: $sgpr1
	v_cmpx_eq_u16_e32 0x80, v35
; %bb.492:
	s_movk_i32 s1, 0x7c01
	s_xor_b32 s0, exec_lo, -1
; %bb.493:
	s_or_b32 exec_lo, exec_lo, s3
	s_delay_alu instid0(SALU_CYCLE_1)
	s_and_b32 s0, s0, exec_lo
                                        ; implicit-def: $vgpr35
	s_or_saveexec_b32 s2, s2
	v_mov_b32_e32 v32, s1
	s_xor_b32 exec_lo, exec_lo, s2
	s_cbranch_execz .LBB3_106
.LBB3_494:
	v_cmp_ne_u16_e32 vcc_lo, 0, v35
	v_mov_b32_e32 v32, 0
	s_and_not1_b32 s0, s0, exec_lo
	s_and_b32 s1, vcc_lo, exec_lo
	s_delay_alu instid0(SALU_CYCLE_1)
	s_or_b32 s0, s0, s1
	s_or_b32 exec_lo, exec_lo, s2
	s_and_saveexec_b32 s1, s0
	s_cbranch_execnz .LBB3_107
	s_branch .LBB3_108
.LBB3_495:
	s_mov_b32 s0, -1
	s_mov_b32 s3, exec_lo
                                        ; implicit-def: $sgpr1
	v_cmpx_eq_u16_e32 0x80, v35
; %bb.496:
	s_movk_i32 s1, 0x7c01
	s_xor_b32 s0, exec_lo, -1
; %bb.497:
	s_or_b32 exec_lo, exec_lo, s3
	s_delay_alu instid0(SALU_CYCLE_1)
	s_and_b32 s0, s0, exec_lo
	s_or_saveexec_b32 s2, s2
	v_mov_b32_e32 v33, s1
	s_xor_b32 exec_lo, exec_lo, s2
	s_cbranch_execz .LBB3_110
.LBB3_498:
	v_cmp_ne_u16_e32 vcc_lo, 0, v35
	v_mov_b32_e32 v33, 0
	s_and_not1_b32 s0, s0, exec_lo
	s_and_b32 s1, vcc_lo, exec_lo
	s_delay_alu instid0(SALU_CYCLE_1)
	s_or_b32 s0, s0, s1
	s_or_b32 exec_lo, exec_lo, s2
	s_and_saveexec_b32 s1, s0
	s_cbranch_execnz .LBB3_111
	s_branch .LBB3_112
.LBB3_499:
	s_mov_b32 s0, -1
	s_mov_b32 s3, exec_lo
                                        ; implicit-def: $sgpr1
	v_cmpx_eq_u16_e32 0x80, v34
; %bb.500:
	s_movk_i32 s1, 0x7c01
	s_xor_b32 s0, exec_lo, -1
; %bb.501:
	s_or_b32 exec_lo, exec_lo, s3
	s_delay_alu instid0(SALU_CYCLE_1)
	s_and_b32 s0, s0, exec_lo
                                        ; implicit-def: $vgpr34
	s_or_saveexec_b32 s2, s2
	v_mov_b32_e32 v1, s1
	s_xor_b32 exec_lo, exec_lo, s2
	s_cbranch_execz .LBB3_114
.LBB3_502:
	v_cmp_ne_u16_e32 vcc_lo, 0, v34
	v_mov_b32_e32 v1, 0
	s_and_not1_b32 s0, s0, exec_lo
	s_and_b32 s1, vcc_lo, exec_lo
	s_delay_alu instid0(SALU_CYCLE_1)
	s_or_b32 s0, s0, s1
	s_or_b32 exec_lo, exec_lo, s2
	s_and_saveexec_b32 s1, s0
	s_cbranch_execnz .LBB3_115
	s_branch .LBB3_116
.LBB3_503:
	s_mov_b32 s0, -1
	s_mov_b32 s3, exec_lo
                                        ; implicit-def: $sgpr1
	v_cmpx_eq_u16_e32 0x80, v35
; %bb.504:
	s_movk_i32 s1, 0x7c01
	s_xor_b32 s0, exec_lo, -1
; %bb.505:
	s_or_b32 exec_lo, exec_lo, s3
	s_delay_alu instid0(SALU_CYCLE_1)
	s_and_b32 s0, s0, exec_lo
                                        ; implicit-def: $vgpr35
	s_or_saveexec_b32 s2, s2
	v_mov_b32_e32 v34, s1
	s_xor_b32 exec_lo, exec_lo, s2
	s_cbranch_execz .LBB3_118
.LBB3_506:
	v_cmp_ne_u16_e32 vcc_lo, 0, v35
	v_mov_b32_e32 v34, 0
	s_and_not1_b32 s0, s0, exec_lo
	s_and_b32 s1, vcc_lo, exec_lo
	s_delay_alu instid0(SALU_CYCLE_1)
	s_or_b32 s0, s0, s1
	s_or_b32 exec_lo, exec_lo, s2
	s_and_saveexec_b32 s1, s0
	s_cbranch_execnz .LBB3_119
	s_branch .LBB3_120
.LBB3_507:
	s_mov_b32 s0, -1
	s_mov_b32 s3, exec_lo
                                        ; implicit-def: $sgpr1
	v_cmpx_eq_u16_e32 0x80, v38
; %bb.508:
	s_movk_i32 s1, 0x7c01
	s_xor_b32 s0, exec_lo, -1
; %bb.509:
	s_or_b32 exec_lo, exec_lo, s3
	s_delay_alu instid0(SALU_CYCLE_1)
	s_and_b32 s0, s0, exec_lo
                                        ; implicit-def: $vgpr38
	s_or_saveexec_b32 s2, s2
	v_mov_b32_e32 v35, s1
	s_xor_b32 exec_lo, exec_lo, s2
	s_cbranch_execz .LBB3_122
.LBB3_510:
	v_cmp_ne_u16_e32 vcc_lo, 0, v38
	v_mov_b32_e32 v35, 0
	s_and_not1_b32 s0, s0, exec_lo
	s_and_b32 s1, vcc_lo, exec_lo
	s_delay_alu instid0(SALU_CYCLE_1)
	s_or_b32 s0, s0, s1
	s_or_b32 exec_lo, exec_lo, s2
	s_and_saveexec_b32 s1, s0
	s_cbranch_execnz .LBB3_123
	s_branch .LBB3_124
.LBB3_511:
	s_mov_b32 s0, -1
	s_mov_b32 s3, exec_lo
                                        ; implicit-def: $sgpr1
	v_cmpx_eq_u16_e32 0x80, v38
; %bb.512:
	s_movk_i32 s1, 0x7c01
	s_xor_b32 s0, exec_lo, -1
; %bb.513:
	s_or_b32 exec_lo, exec_lo, s3
	s_delay_alu instid0(SALU_CYCLE_1)
	s_and_b32 s0, s0, exec_lo
	s_or_saveexec_b32 s2, s2
	v_mov_b32_e32 v36, s1
	s_xor_b32 exec_lo, exec_lo, s2
	s_cbranch_execz .LBB3_126
.LBB3_514:
	v_cmp_ne_u16_e32 vcc_lo, 0, v38
	v_mov_b32_e32 v36, 0
	s_and_not1_b32 s0, s0, exec_lo
	s_and_b32 s1, vcc_lo, exec_lo
	s_delay_alu instid0(SALU_CYCLE_1)
	s_or_b32 s0, s0, s1
	s_or_b32 exec_lo, exec_lo, s2
	s_and_saveexec_b32 s1, s0
	s_cbranch_execnz .LBB3_127
	s_branch .LBB3_128
	.section	.rodata,"a",@progbits
	.p2align	6, 0x0
	.amdhsa_kernel _ZN2ck27kernel_gemm_xdl_cshuffle_v1INS_43GridwiseGemm_k0mk1_k0nk1_mn_xdl_cshuffle_v1INS_13tensor_layout4gemm8RowMajorENS3_11ColumnMajorES4_NS_9f8_fnuz_tEDF16_fDF16_DF16_NS_16tensor_operation12element_wise11PassThroughES9_S9_LNS7_6device18GemmSpecializationE0ELNS_25InMemoryDataOperationEnumE0ELi1ELi256ELi256ELi128ELi32ELi8ELi8ELi16ELi16ELi8ELi2ENS_8SequenceIJLi4ELi64ELi1EEEENSD_IJLi1ELi0ELi2EEEESF_Li2ELi8ELi8ELb0ELi1ESE_SF_SF_Li2ELi8ELi8ELb0ELi1ELi1ELi1ENSD_IJLi1ELi32ELi1ELi8EEEELi4ELNS_13LoopSchedulerE0ELNS_15PipelineVersionE0EDF16_DF16_EELb1EEEvNT_8ArgumentE
		.amdhsa_group_segment_fixed_size 24672
		.amdhsa_private_segment_fixed_size 0
		.amdhsa_kernarg_size 96
		.amdhsa_user_sgpr_count 15
		.amdhsa_user_sgpr_dispatch_ptr 0
		.amdhsa_user_sgpr_queue_ptr 0
		.amdhsa_user_sgpr_kernarg_segment_ptr 1
		.amdhsa_user_sgpr_dispatch_id 0
		.amdhsa_user_sgpr_private_segment_size 0
		.amdhsa_wavefront_size32 1
		.amdhsa_uses_dynamic_stack 0
		.amdhsa_enable_private_segment 0
		.amdhsa_system_sgpr_workgroup_id_x 1
		.amdhsa_system_sgpr_workgroup_id_y 0
		.amdhsa_system_sgpr_workgroup_id_z 0
		.amdhsa_system_sgpr_workgroup_info 0
		.amdhsa_system_vgpr_workitem_id 0
		.amdhsa_next_free_vgpr 204
		.amdhsa_next_free_sgpr 22
		.amdhsa_reserve_vcc 1
		.amdhsa_float_round_mode_32 0
		.amdhsa_float_round_mode_16_64 0
		.amdhsa_float_denorm_mode_32 3
		.amdhsa_float_denorm_mode_16_64 3
		.amdhsa_dx10_clamp 1
		.amdhsa_ieee_mode 1
		.amdhsa_fp16_overflow 0
		.amdhsa_workgroup_processor_mode 1
		.amdhsa_memory_ordered 1
		.amdhsa_forward_progress 0
		.amdhsa_shared_vgpr_count 0
		.amdhsa_exception_fp_ieee_invalid_op 0
		.amdhsa_exception_fp_denorm_src 0
		.amdhsa_exception_fp_ieee_div_zero 0
		.amdhsa_exception_fp_ieee_overflow 0
		.amdhsa_exception_fp_ieee_underflow 0
		.amdhsa_exception_fp_ieee_inexact 0
		.amdhsa_exception_int_div_zero 0
	.end_amdhsa_kernel
	.section	.text._ZN2ck27kernel_gemm_xdl_cshuffle_v1INS_43GridwiseGemm_k0mk1_k0nk1_mn_xdl_cshuffle_v1INS_13tensor_layout4gemm8RowMajorENS3_11ColumnMajorES4_NS_9f8_fnuz_tEDF16_fDF16_DF16_NS_16tensor_operation12element_wise11PassThroughES9_S9_LNS7_6device18GemmSpecializationE0ELNS_25InMemoryDataOperationEnumE0ELi1ELi256ELi256ELi128ELi32ELi8ELi8ELi16ELi16ELi8ELi2ENS_8SequenceIJLi4ELi64ELi1EEEENSD_IJLi1ELi0ELi2EEEESF_Li2ELi8ELi8ELb0ELi1ESE_SF_SF_Li2ELi8ELi8ELb0ELi1ELi1ELi1ENSD_IJLi1ELi32ELi1ELi8EEEELi4ELNS_13LoopSchedulerE0ELNS_15PipelineVersionE0EDF16_DF16_EELb1EEEvNT_8ArgumentE,"axG",@progbits,_ZN2ck27kernel_gemm_xdl_cshuffle_v1INS_43GridwiseGemm_k0mk1_k0nk1_mn_xdl_cshuffle_v1INS_13tensor_layout4gemm8RowMajorENS3_11ColumnMajorES4_NS_9f8_fnuz_tEDF16_fDF16_DF16_NS_16tensor_operation12element_wise11PassThroughES9_S9_LNS7_6device18GemmSpecializationE0ELNS_25InMemoryDataOperationEnumE0ELi1ELi256ELi256ELi128ELi32ELi8ELi8ELi16ELi16ELi8ELi2ENS_8SequenceIJLi4ELi64ELi1EEEENSD_IJLi1ELi0ELi2EEEESF_Li2ELi8ELi8ELb0ELi1ESE_SF_SF_Li2ELi8ELi8ELb0ELi1ELi1ELi1ENSD_IJLi1ELi32ELi1ELi8EEEELi4ELNS_13LoopSchedulerE0ELNS_15PipelineVersionE0EDF16_DF16_EELb1EEEvNT_8ArgumentE,comdat
.Lfunc_end3:
	.size	_ZN2ck27kernel_gemm_xdl_cshuffle_v1INS_43GridwiseGemm_k0mk1_k0nk1_mn_xdl_cshuffle_v1INS_13tensor_layout4gemm8RowMajorENS3_11ColumnMajorES4_NS_9f8_fnuz_tEDF16_fDF16_DF16_NS_16tensor_operation12element_wise11PassThroughES9_S9_LNS7_6device18GemmSpecializationE0ELNS_25InMemoryDataOperationEnumE0ELi1ELi256ELi256ELi128ELi32ELi8ELi8ELi16ELi16ELi8ELi2ENS_8SequenceIJLi4ELi64ELi1EEEENSD_IJLi1ELi0ELi2EEEESF_Li2ELi8ELi8ELb0ELi1ESE_SF_SF_Li2ELi8ELi8ELb0ELi1ELi1ELi1ENSD_IJLi1ELi32ELi1ELi8EEEELi4ELNS_13LoopSchedulerE0ELNS_15PipelineVersionE0EDF16_DF16_EELb1EEEvNT_8ArgumentE, .Lfunc_end3-_ZN2ck27kernel_gemm_xdl_cshuffle_v1INS_43GridwiseGemm_k0mk1_k0nk1_mn_xdl_cshuffle_v1INS_13tensor_layout4gemm8RowMajorENS3_11ColumnMajorES4_NS_9f8_fnuz_tEDF16_fDF16_DF16_NS_16tensor_operation12element_wise11PassThroughES9_S9_LNS7_6device18GemmSpecializationE0ELNS_25InMemoryDataOperationEnumE0ELi1ELi256ELi256ELi128ELi32ELi8ELi8ELi16ELi16ELi8ELi2ENS_8SequenceIJLi4ELi64ELi1EEEENSD_IJLi1ELi0ELi2EEEESF_Li2ELi8ELi8ELb0ELi1ESE_SF_SF_Li2ELi8ELi8ELb0ELi1ELi1ELi1ENSD_IJLi1ELi32ELi1ELi8EEEELi4ELNS_13LoopSchedulerE0ELNS_15PipelineVersionE0EDF16_DF16_EELb1EEEvNT_8ArgumentE
                                        ; -- End function
	.section	.AMDGPU.csdata,"",@progbits
; Kernel info:
; codeLenInByte = 24252
; NumSgprs: 24
; NumVgprs: 204
; ScratchSize: 0
; MemoryBound: 0
; FloatMode: 240
; IeeeMode: 1
; LDSByteSize: 24672 bytes/workgroup (compile time only)
; SGPRBlocks: 2
; VGPRBlocks: 25
; NumSGPRsForWavesPerEU: 24
; NumVGPRsForWavesPerEU: 204
; Occupancy: 7
; WaveLimiterHint : 0
; COMPUTE_PGM_RSRC2:SCRATCH_EN: 0
; COMPUTE_PGM_RSRC2:USER_SGPR: 15
; COMPUTE_PGM_RSRC2:TRAP_HANDLER: 0
; COMPUTE_PGM_RSRC2:TGID_X_EN: 1
; COMPUTE_PGM_RSRC2:TGID_Y_EN: 0
; COMPUTE_PGM_RSRC2:TGID_Z_EN: 0
; COMPUTE_PGM_RSRC2:TIDIG_COMP_CNT: 0
	.section	.text._ZN2ck27kernel_gemm_xdl_cshuffle_v1INS_43GridwiseGemm_k0mk1_k0nk1_mn_xdl_cshuffle_v1INS_13tensor_layout4gemm8RowMajorENS3_11ColumnMajorES4_NS_9f8_fnuz_tEDF16_fDF16_DF16_NS_16tensor_operation12element_wise11PassThroughES9_S9_LNS7_6device18GemmSpecializationE0ELNS_25InMemoryDataOperationEnumE0ELi1ELi256ELi256ELi128ELi32ELi8ELi8ELi16ELi16ELi8ELi2ENS_8SequenceIJLi4ELi64ELi1EEEENSD_IJLi1ELi0ELi2EEEESF_Li2ELi8ELi8ELb0ELi1ESE_SF_SF_Li2ELi8ELi8ELb0ELi1ELi1ELi1ENSD_IJLi1ELi32ELi1ELi8EEEELi4ELNS_13LoopSchedulerE0ELNS_15PipelineVersionE0EDF16_DF16_EELb0EEEvNT_8ArgumentE,"axG",@progbits,_ZN2ck27kernel_gemm_xdl_cshuffle_v1INS_43GridwiseGemm_k0mk1_k0nk1_mn_xdl_cshuffle_v1INS_13tensor_layout4gemm8RowMajorENS3_11ColumnMajorES4_NS_9f8_fnuz_tEDF16_fDF16_DF16_NS_16tensor_operation12element_wise11PassThroughES9_S9_LNS7_6device18GemmSpecializationE0ELNS_25InMemoryDataOperationEnumE0ELi1ELi256ELi256ELi128ELi32ELi8ELi8ELi16ELi16ELi8ELi2ENS_8SequenceIJLi4ELi64ELi1EEEENSD_IJLi1ELi0ELi2EEEESF_Li2ELi8ELi8ELb0ELi1ESE_SF_SF_Li2ELi8ELi8ELb0ELi1ELi1ELi1ENSD_IJLi1ELi32ELi1ELi8EEEELi4ELNS_13LoopSchedulerE0ELNS_15PipelineVersionE0EDF16_DF16_EELb0EEEvNT_8ArgumentE,comdat
	.protected	_ZN2ck27kernel_gemm_xdl_cshuffle_v1INS_43GridwiseGemm_k0mk1_k0nk1_mn_xdl_cshuffle_v1INS_13tensor_layout4gemm8RowMajorENS3_11ColumnMajorES4_NS_9f8_fnuz_tEDF16_fDF16_DF16_NS_16tensor_operation12element_wise11PassThroughES9_S9_LNS7_6device18GemmSpecializationE0ELNS_25InMemoryDataOperationEnumE0ELi1ELi256ELi256ELi128ELi32ELi8ELi8ELi16ELi16ELi8ELi2ENS_8SequenceIJLi4ELi64ELi1EEEENSD_IJLi1ELi0ELi2EEEESF_Li2ELi8ELi8ELb0ELi1ESE_SF_SF_Li2ELi8ELi8ELb0ELi1ELi1ELi1ENSD_IJLi1ELi32ELi1ELi8EEEELi4ELNS_13LoopSchedulerE0ELNS_15PipelineVersionE0EDF16_DF16_EELb0EEEvNT_8ArgumentE ; -- Begin function _ZN2ck27kernel_gemm_xdl_cshuffle_v1INS_43GridwiseGemm_k0mk1_k0nk1_mn_xdl_cshuffle_v1INS_13tensor_layout4gemm8RowMajorENS3_11ColumnMajorES4_NS_9f8_fnuz_tEDF16_fDF16_DF16_NS_16tensor_operation12element_wise11PassThroughES9_S9_LNS7_6device18GemmSpecializationE0ELNS_25InMemoryDataOperationEnumE0ELi1ELi256ELi256ELi128ELi32ELi8ELi8ELi16ELi16ELi8ELi2ENS_8SequenceIJLi4ELi64ELi1EEEENSD_IJLi1ELi0ELi2EEEESF_Li2ELi8ELi8ELb0ELi1ESE_SF_SF_Li2ELi8ELi8ELb0ELi1ELi1ELi1ENSD_IJLi1ELi32ELi1ELi8EEEELi4ELNS_13LoopSchedulerE0ELNS_15PipelineVersionE0EDF16_DF16_EELb0EEEvNT_8ArgumentE
	.globl	_ZN2ck27kernel_gemm_xdl_cshuffle_v1INS_43GridwiseGemm_k0mk1_k0nk1_mn_xdl_cshuffle_v1INS_13tensor_layout4gemm8RowMajorENS3_11ColumnMajorES4_NS_9f8_fnuz_tEDF16_fDF16_DF16_NS_16tensor_operation12element_wise11PassThroughES9_S9_LNS7_6device18GemmSpecializationE0ELNS_25InMemoryDataOperationEnumE0ELi1ELi256ELi256ELi128ELi32ELi8ELi8ELi16ELi16ELi8ELi2ENS_8SequenceIJLi4ELi64ELi1EEEENSD_IJLi1ELi0ELi2EEEESF_Li2ELi8ELi8ELb0ELi1ESE_SF_SF_Li2ELi8ELi8ELb0ELi1ELi1ELi1ENSD_IJLi1ELi32ELi1ELi8EEEELi4ELNS_13LoopSchedulerE0ELNS_15PipelineVersionE0EDF16_DF16_EELb0EEEvNT_8ArgumentE
	.p2align	8
	.type	_ZN2ck27kernel_gemm_xdl_cshuffle_v1INS_43GridwiseGemm_k0mk1_k0nk1_mn_xdl_cshuffle_v1INS_13tensor_layout4gemm8RowMajorENS3_11ColumnMajorES4_NS_9f8_fnuz_tEDF16_fDF16_DF16_NS_16tensor_operation12element_wise11PassThroughES9_S9_LNS7_6device18GemmSpecializationE0ELNS_25InMemoryDataOperationEnumE0ELi1ELi256ELi256ELi128ELi32ELi8ELi8ELi16ELi16ELi8ELi2ENS_8SequenceIJLi4ELi64ELi1EEEENSD_IJLi1ELi0ELi2EEEESF_Li2ELi8ELi8ELb0ELi1ESE_SF_SF_Li2ELi8ELi8ELb0ELi1ELi1ELi1ENSD_IJLi1ELi32ELi1ELi8EEEELi4ELNS_13LoopSchedulerE0ELNS_15PipelineVersionE0EDF16_DF16_EELb0EEEvNT_8ArgumentE,@function
_ZN2ck27kernel_gemm_xdl_cshuffle_v1INS_43GridwiseGemm_k0mk1_k0nk1_mn_xdl_cshuffle_v1INS_13tensor_layout4gemm8RowMajorENS3_11ColumnMajorES4_NS_9f8_fnuz_tEDF16_fDF16_DF16_NS_16tensor_operation12element_wise11PassThroughES9_S9_LNS7_6device18GemmSpecializationE0ELNS_25InMemoryDataOperationEnumE0ELi1ELi256ELi256ELi128ELi32ELi8ELi8ELi16ELi16ELi8ELi2ENS_8SequenceIJLi4ELi64ELi1EEEENSD_IJLi1ELi0ELi2EEEESF_Li2ELi8ELi8ELb0ELi1ESE_SF_SF_Li2ELi8ELi8ELb0ELi1ELi1ELi1ENSD_IJLi1ELi32ELi1ELi8EEEELi4ELNS_13LoopSchedulerE0ELNS_15PipelineVersionE0EDF16_DF16_EELb0EEEvNT_8ArgumentE: ; @_ZN2ck27kernel_gemm_xdl_cshuffle_v1INS_43GridwiseGemm_k0mk1_k0nk1_mn_xdl_cshuffle_v1INS_13tensor_layout4gemm8RowMajorENS3_11ColumnMajorES4_NS_9f8_fnuz_tEDF16_fDF16_DF16_NS_16tensor_operation12element_wise11PassThroughES9_S9_LNS7_6device18GemmSpecializationE0ELNS_25InMemoryDataOperationEnumE0ELi1ELi256ELi256ELi128ELi32ELi8ELi8ELi16ELi16ELi8ELi2ENS_8SequenceIJLi4ELi64ELi1EEEENSD_IJLi1ELi0ELi2EEEESF_Li2ELi8ELi8ELb0ELi1ESE_SF_SF_Li2ELi8ELi8ELb0ELi1ELi1ELi1ENSD_IJLi1ELi32ELi1ELi8EEEELi4ELNS_13LoopSchedulerE0ELNS_15PipelineVersionE0EDF16_DF16_EELb0EEEvNT_8ArgumentE
; %bb.0:
	s_clause 0x1
	s_load_b128 s[8:11], s[0:1], 0x10
	s_load_b64 s[16:17], s[0:1], 0x20
	s_add_u32 s12, 0, 0
	v_and_b32_e32 v5, 0xfc, v0
	v_and_b32_e32 v16, 3, v0
	s_waitcnt lgkmcnt(0)
	s_addc_u32 s13, s8, -1
	s_add_i32 s2, s8, 0xff
	s_add_i32 s3, s9, 0x7f
	s_ashr_i32 s4, s2, 31
	s_ashr_i32 s5, s3, 31
	s_lshr_b32 s4, s4, 24
	s_lshr_b32 s5, s5, 25
	s_add_i32 s2, s2, s4
	s_add_i32 s3, s3, s5
	s_ashr_i32 s2, s2, 8
	s_ashr_i32 s3, s3, 7
	s_abs_i32 s7, s15
	s_mul_i32 s4, s3, s2
	s_delay_alu instid0(SALU_CYCLE_1) | instskip(NEXT) | instid1(SALU_CYCLE_1)
	s_abs_i32 s4, s4
	v_cvt_f32_u32_e32 v1, s4
	s_sub_i32 s6, 0, s4
	s_delay_alu instid0(VALU_DEP_1) | instskip(SKIP_2) | instid1(VALU_DEP_1)
	v_rcp_iflag_f32_e32 v1, v1
	s_waitcnt_depctr 0xfff
	v_mul_f32_e32 v1, 0x4f7ffffe, v1
	v_cvt_u32_f32_e32 v1, v1
	s_delay_alu instid0(VALU_DEP_1) | instskip(NEXT) | instid1(VALU_DEP_1)
	v_readfirstlane_b32 s5, v1
	s_mul_i32 s6, s6, s5
	s_delay_alu instid0(SALU_CYCLE_1) | instskip(NEXT) | instid1(SALU_CYCLE_1)
	s_mul_hi_u32 s6, s5, s6
	s_add_i32 s5, s5, s6
	s_ashr_i32 s6, s15, 31
	s_mul_hi_u32 s5, s7, s5
	s_delay_alu instid0(SALU_CYCLE_1) | instskip(NEXT) | instid1(SALU_CYCLE_1)
	s_mul_i32 s5, s5, s4
	s_sub_i32 s5, s7, s5
	s_delay_alu instid0(SALU_CYCLE_1) | instskip(SKIP_2) | instid1(SALU_CYCLE_1)
	s_sub_i32 s7, s5, s4
	s_cmp_ge_u32 s5, s4
	s_cselect_b32 s5, s7, s5
	s_sub_i32 s7, s5, s4
	s_cmp_ge_u32 s5, s4
	s_cselect_b32 s4, s7, s5
	s_abs_i32 s5, s3
	s_xor_b32 s4, s4, s6
	v_cvt_f32_u32_e32 v1, s5
	s_sub_i32 s8, 0, s5
	s_sub_i32 s4, s4, s6
	s_delay_alu instid0(VALU_DEP_1) | instskip(SKIP_2) | instid1(VALU_DEP_1)
	v_rcp_iflag_f32_e32 v1, v1
	s_waitcnt_depctr 0xfff
	v_mul_f32_e32 v1, 0x4f7ffffe, v1
	v_cvt_u32_f32_e32 v1, v1
	s_delay_alu instid0(VALU_DEP_1) | instskip(NEXT) | instid1(VALU_DEP_1)
	v_readfirstlane_b32 s7, v1
	s_mul_i32 s8, s8, s7
	s_delay_alu instid0(SALU_CYCLE_1) | instskip(SKIP_2) | instid1(SALU_CYCLE_1)
	s_mul_hi_u32 s6, s7, s8
	s_abs_i32 s8, s4
	s_add_i32 s7, s7, s6
	s_mul_hi_u32 s6, s8, s7
	s_xor_b32 s7, s4, s3
	s_mul_i32 s14, s6, s5
	s_ashr_i32 s7, s7, 31
	s_sub_i32 s8, s8, s14
	s_add_i32 s14, s6, 1
	s_sub_i32 s15, s8, s5
	s_cmp_ge_u32 s8, s5
	s_cselect_b32 s6, s14, s6
	s_cselect_b32 s8, s15, s8
	s_add_i32 s14, s6, 1
	s_cmp_ge_u32 s8, s5
	s_cselect_b32 s5, s14, s6
	s_lshr_b32 s6, s2, 29
	s_xor_b32 s5, s5, s7
	s_add_i32 s6, s2, s6
	s_sub_i32 s8, s5, s7
	s_and_b32 s6, s6, -8
	s_mul_i32 s7, s8, s3
	s_sub_i32 s2, s2, s6
	s_cmp_ge_i32 s8, s6
	s_cselect_b32 s2, s2, 8
	s_ashr_i32 s6, s8, 31
	s_abs_i32 s5, s2
	s_lshr_b32 s6, s6, 29
	v_cvt_f32_u32_e32 v1, s5
	s_add_i32 s6, s8, s6
	s_sub_i32 s4, s4, s7
	s_and_b32 s6, s6, -8
	s_delay_alu instid0(VALU_DEP_1) | instskip(SKIP_3) | instid1(SALU_CYCLE_1)
	v_rcp_iflag_f32_e32 v1, v1
	s_sub_i32 s15, s8, s6
	s_sub_i32 s6, 0, s5
	s_mul_i32 s3, s15, s3
	s_add_i32 s3, s3, s4
	s_delay_alu instid0(SALU_CYCLE_1) | instskip(NEXT) | instid1(SALU_CYCLE_1)
	s_xor_b32 s7, s3, s2
	s_ashr_i32 s7, s7, 31
	s_waitcnt_depctr 0xfff
	v_mul_f32_e32 v1, 0x4f7ffffe, v1
	s_delay_alu instid0(VALU_DEP_1) | instskip(NEXT) | instid1(VALU_DEP_1)
	v_cvt_u32_f32_e32 v1, v1
	v_readfirstlane_b32 s14, v1
	v_lshlrev_b32_e32 v1, 3, v16
	s_delay_alu instid0(VALU_DEP_2) | instskip(NEXT) | instid1(SALU_CYCLE_1)
	s_mul_i32 s6, s6, s14
	s_mul_hi_u32 s4, s14, s6
	s_abs_i32 s6, s3
	s_add_i32 s14, s14, s4
	s_delay_alu instid0(SALU_CYCLE_1) | instskip(NEXT) | instid1(SALU_CYCLE_1)
	s_mul_hi_u32 s4, s6, s14
	s_mul_i32 s14, s4, s5
	s_delay_alu instid0(SALU_CYCLE_1)
	s_sub_i32 s6, s6, s14
	s_add_i32 s14, s4, 1
	s_sub_i32 s18, s6, s5
	s_cmp_ge_u32 s6, s5
	s_cselect_b32 s4, s14, s4
	s_cselect_b32 s6, s18, s6
	s_add_i32 s14, s4, 1
	s_cmp_ge_u32 s6, s5
	s_load_b64 s[18:19], s[0:1], 0x58
	s_cselect_b32 s4, s14, s4
	s_delay_alu instid0(SALU_CYCLE_1) | instskip(NEXT) | instid1(SALU_CYCLE_1)
	s_xor_b32 s4, s4, s7
	s_sub_i32 s14, s4, s7
	s_load_b128 s[4:7], s[0:1], 0x48
	s_mul_i32 s2, s14, s2
	s_lshl_b32 s20, s14, 7
	s_sub_i32 s2, s3, s2
	s_mov_b32 s3, 0x31004000
	s_add_i32 s2, s2, s8
	s_mov_b32 s14, exec_lo
	s_sub_i32 s8, s2, s15
	s_delay_alu instid0(SALU_CYCLE_1) | instskip(NEXT) | instid1(SALU_CYCLE_1)
	s_lshl_b32 s2, s8, 8
	v_add_nc_u32_e32 v4, s2, v5
	s_mul_i32 s2, s13, s11
	s_delay_alu instid0(SALU_CYCLE_1) | instskip(NEXT) | instid1(VALU_DEP_1)
	s_add_i32 s2, s10, s2
	v_mad_u64_u32 v[2:3], null, v4, s11, v[1:2]
	s_waitcnt lgkmcnt(0)
	s_mov_b32 s0, s4
	s_mov_b32 s1, s5
	;; [unrolled: 1-line block ×3, first 2 shown]
                                        ; implicit-def: $sgpr5
	buffer_load_b64 v[3:4], v2, s[0:3], 0 offen
	s_waitcnt vmcnt(0)
	v_and_b32_e32 v7, 0xff, v3
	s_delay_alu instid0(VALU_DEP_1)
	v_cmpx_lt_i16_e32 0x7f, v7
	s_xor_b32 s14, exec_lo, s14
	s_cbranch_execnz .LBB4_129
; %bb.1:
	s_or_saveexec_b32 s14, s14
	v_mov_b32_e32 v6, s5
	s_xor_b32 exec_lo, exec_lo, s14
	s_cbranch_execnz .LBB4_132
.LBB4_2:
	s_or_b32 exec_lo, exec_lo, s14
	s_and_saveexec_b32 s5, s4
	s_cbranch_execz .LBB4_4
.LBB4_3:
	v_and_b32_e32 v6, 7, v3
	v_lshrrev_b16 v8, 3, v3
	s_delay_alu instid0(VALU_DEP_2) | instskip(NEXT) | instid1(VALU_DEP_1)
	v_clz_i32_u32_e32 v7, v6
	v_min_u32_e32 v7, 32, v7
	s_delay_alu instid0(VALU_DEP_1) | instskip(SKIP_2) | instid1(VALU_DEP_3)
	v_subrev_nc_u32_e32 v9, 28, v7
	v_sub_nc_u32_e32 v7, 29, v7
	v_and_b32_e32 v8, 15, v8
	v_lshlrev_b32_e32 v9, v9, v3
	s_delay_alu instid0(VALU_DEP_2) | instskip(SKIP_2) | instid1(VALU_DEP_4)
	v_and_b32_e32 v10, 0xffff, v8
	v_cmp_eq_u16_e32 vcc_lo, 0, v8
	v_lshlrev_b32_e32 v8, 8, v3
	v_and_b32_e32 v9, 7, v9
	s_delay_alu instid0(VALU_DEP_2) | instskip(NEXT) | instid1(VALU_DEP_2)
	v_dual_cndmask_b32 v7, v10, v7 :: v_dual_and_b32 v8, 0x8000, v8
	v_cndmask_b32_e32 v6, v6, v9, vcc_lo
	s_delay_alu instid0(VALU_DEP_2) | instskip(NEXT) | instid1(VALU_DEP_2)
	v_lshl_add_u32 v7, v7, 10, 0x1c00
	v_lshlrev_b32_e32 v6, 7, v6
	s_delay_alu instid0(VALU_DEP_1)
	v_or3_b32 v6, v8, v7, v6
.LBB4_4:
	s_or_b32 exec_lo, exec_lo, s5
	v_lshrrev_b32_e32 v8, 8, v3
	s_mov_b32 s4, 0
	s_mov_b32 s14, exec_lo
                                        ; implicit-def: $sgpr5
	s_delay_alu instid0(VALU_DEP_1) | instskip(NEXT) | instid1(VALU_DEP_1)
	v_and_b32_e32 v9, 0xff, v8
	v_cmpx_lt_i16_e32 0x7f, v9
	s_xor_b32 s14, exec_lo, s14
	s_cbranch_execnz .LBB4_133
; %bb.5:
	s_or_saveexec_b32 s14, s14
	v_mov_b32_e32 v7, s5
	s_xor_b32 exec_lo, exec_lo, s14
	s_cbranch_execnz .LBB4_136
.LBB4_6:
	s_or_b32 exec_lo, exec_lo, s14
	s_and_saveexec_b32 s5, s4
	s_cbranch_execz .LBB4_8
.LBB4_7:
	v_bfe_u32 v7, v3, 8, 3
	v_lshrrev_b16 v10, 3, v8
	s_delay_alu instid0(VALU_DEP_2) | instskip(NEXT) | instid1(VALU_DEP_1)
	v_clz_i32_u32_e32 v9, v7
	v_min_u32_e32 v9, 32, v9
	s_delay_alu instid0(VALU_DEP_1) | instskip(SKIP_1) | instid1(VALU_DEP_2)
	v_subrev_nc_u32_e32 v11, 28, v9
	v_sub_nc_u32_e32 v9, 29, v9
	v_lshlrev_b32_e32 v11, v11, v8
	s_delay_alu instid0(VALU_DEP_1) | instskip(SKIP_1) | instid1(VALU_DEP_1)
	v_and_b32_e32 v11, 7, v11
	v_and_b32_e32 v10, 15, v10
	v_cmp_eq_u16_e32 vcc_lo, 0, v10
	s_delay_alu instid0(VALU_DEP_3) | instskip(SKIP_1) | instid1(VALU_DEP_2)
	v_dual_cndmask_b32 v7, v7, v11 :: v_dual_and_b32 v12, 0xffff, v10
	v_and_b32_e32 v10, 0x8000, v3
	v_lshlrev_b32_e32 v7, 7, v7
	s_delay_alu instid0(VALU_DEP_3) | instskip(NEXT) | instid1(VALU_DEP_1)
	v_cndmask_b32_e32 v9, v12, v9, vcc_lo
	v_lshl_add_u32 v9, v9, 10, 0x1c00
	s_delay_alu instid0(VALU_DEP_1)
	v_or3_b32 v7, v10, v9, v7
.LBB4_8:
	s_or_b32 exec_lo, exec_lo, s5
	v_lshrrev_b32_e32 v9, 16, v3
	s_mov_b32 s4, 0
	s_mov_b32 s14, exec_lo
                                        ; implicit-def: $sgpr5
	s_delay_alu instid0(VALU_DEP_1) | instskip(NEXT) | instid1(VALU_DEP_1)
	v_and_b32_e32 v10, 0xff, v9
	v_cmpx_lt_i16_e32 0x7f, v10
	s_xor_b32 s14, exec_lo, s14
	s_cbranch_execnz .LBB4_137
; %bb.9:
	s_or_saveexec_b32 s14, s14
	v_mov_b32_e32 v17, s5
	s_xor_b32 exec_lo, exec_lo, s14
	s_cbranch_execnz .LBB4_140
.LBB4_10:
	s_or_b32 exec_lo, exec_lo, s14
	s_and_saveexec_b32 s5, s4
	s_cbranch_execz .LBB4_12
.LBB4_11:
	v_bfe_u32 v10, v3, 16, 3
	v_lshrrev_b32_e32 v13, 19, v3
	v_bfe_u32 v14, v3, 19, 4
	v_and_b32_e32 v8, 0x8000, v8
	s_delay_alu instid0(VALU_DEP_4) | instskip(NEXT) | instid1(VALU_DEP_4)
	v_clz_i32_u32_e32 v11, v10
	v_and_b32_e32 v13, 15, v13
	s_delay_alu instid0(VALU_DEP_2) | instskip(NEXT) | instid1(VALU_DEP_2)
	v_min_u32_e32 v11, 32, v11
	v_cmp_eq_u16_e32 vcc_lo, 0, v13
	s_delay_alu instid0(VALU_DEP_2) | instskip(SKIP_1) | instid1(VALU_DEP_1)
	v_subrev_nc_u32_e32 v12, 28, v11
	v_sub_nc_u32_e32 v11, 29, v11
	v_dual_cndmask_b32 v11, v14, v11 :: v_dual_lshlrev_b32 v12, v12, v9
	s_delay_alu instid0(VALU_DEP_1) | instskip(NEXT) | instid1(VALU_DEP_2)
	v_and_b32_e32 v12, 7, v12
	v_lshl_add_u32 v11, v11, 10, 0x1c00
	s_delay_alu instid0(VALU_DEP_2) | instskip(NEXT) | instid1(VALU_DEP_1)
	v_cndmask_b32_e32 v10, v10, v12, vcc_lo
	v_lshlrev_b32_e32 v10, 7, v10
	s_delay_alu instid0(VALU_DEP_1)
	v_or3_b32 v17, v8, v11, v10
.LBB4_12:
	s_or_b32 exec_lo, exec_lo, s5
	v_lshrrev_b32_e32 v8, 24, v3
	s_mov_b32 s4, 0
	s_mov_b32 s14, exec_lo
                                        ; implicit-def: $sgpr5
	s_delay_alu instid0(VALU_DEP_1)
	v_cmpx_lt_i16_e32 0x7f, v8
	s_xor_b32 s14, exec_lo, s14
	s_cbranch_execnz .LBB4_141
; %bb.13:
	s_or_saveexec_b32 s14, s14
	v_mov_b32_e32 v18, s5
	s_xor_b32 exec_lo, exec_lo, s14
	s_cbranch_execnz .LBB4_144
.LBB4_14:
	s_or_b32 exec_lo, exec_lo, s14
	s_and_saveexec_b32 s5, s4
	s_cbranch_execz .LBB4_16
.LBB4_15:
	v_bfe_u32 v10, v3, 24, 3
	v_lshrrev_b32_e32 v13, 27, v3
	v_bfe_u32 v3, v3, 27, 4
	v_and_b32_e32 v9, 0x8000, v9
	s_delay_alu instid0(VALU_DEP_4) | instskip(NEXT) | instid1(VALU_DEP_1)
	v_clz_i32_u32_e32 v11, v10
	v_min_u32_e32 v11, 32, v11
	s_delay_alu instid0(VALU_DEP_1) | instskip(SKIP_1) | instid1(VALU_DEP_2)
	v_subrev_nc_u32_e32 v12, 28, v11
	v_sub_nc_u32_e32 v11, 29, v11
	v_lshlrev_b32_e32 v8, v12, v8
	v_and_b32_e32 v12, 15, v13
	s_delay_alu instid0(VALU_DEP_1) | instskip(NEXT) | instid1(VALU_DEP_3)
	v_cmp_eq_u16_e32 vcc_lo, 0, v12
	v_dual_cndmask_b32 v3, v3, v11 :: v_dual_and_b32 v8, 7, v8
	s_delay_alu instid0(VALU_DEP_1) | instskip(NEXT) | instid1(VALU_DEP_2)
	v_lshl_add_u32 v3, v3, 10, 0x1c00
	v_cndmask_b32_e32 v8, v10, v8, vcc_lo
	s_delay_alu instid0(VALU_DEP_1) | instskip(NEXT) | instid1(VALU_DEP_1)
	v_lshlrev_b32_e32 v8, 7, v8
	v_or3_b32 v18, v9, v3, v8
.LBB4_16:
	s_or_b32 exec_lo, exec_lo, s5
	v_and_b32_e32 v3, 0xff, v4
	s_mov_b32 s4, 0
	s_mov_b32 s14, exec_lo
                                        ; implicit-def: $sgpr5
	s_delay_alu instid0(VALU_DEP_1)
	v_cmpx_lt_i16_e32 0x7f, v3
	s_xor_b32 s14, exec_lo, s14
	s_cbranch_execnz .LBB4_145
; %bb.17:
	s_or_saveexec_b32 s14, s14
	v_mov_b32_e32 v19, s5
	s_xor_b32 exec_lo, exec_lo, s14
	s_cbranch_execnz .LBB4_148
.LBB4_18:
	s_or_b32 exec_lo, exec_lo, s14
	s_and_saveexec_b32 s5, s4
	s_cbranch_execz .LBB4_20
.LBB4_19:
	v_and_b32_e32 v3, 7, v4
	v_lshrrev_b16 v9, 3, v4
	s_delay_alu instid0(VALU_DEP_2) | instskip(NEXT) | instid1(VALU_DEP_1)
	v_clz_i32_u32_e32 v8, v3
	v_min_u32_e32 v8, 32, v8
	s_delay_alu instid0(VALU_DEP_1) | instskip(SKIP_2) | instid1(VALU_DEP_3)
	v_subrev_nc_u32_e32 v10, 28, v8
	v_sub_nc_u32_e32 v8, 29, v8
	v_and_b32_e32 v9, 15, v9
	v_lshlrev_b32_e32 v10, v10, v4
	s_delay_alu instid0(VALU_DEP_2) | instskip(SKIP_2) | instid1(VALU_DEP_4)
	v_and_b32_e32 v11, 0xffff, v9
	v_cmp_eq_u16_e32 vcc_lo, 0, v9
	v_lshlrev_b32_e32 v9, 8, v4
	v_and_b32_e32 v10, 7, v10
	s_delay_alu instid0(VALU_DEP_2) | instskip(NEXT) | instid1(VALU_DEP_2)
	v_dual_cndmask_b32 v8, v11, v8 :: v_dual_and_b32 v9, 0x8000, v9
	v_cndmask_b32_e32 v3, v3, v10, vcc_lo
	s_delay_alu instid0(VALU_DEP_2) | instskip(NEXT) | instid1(VALU_DEP_2)
	v_lshl_add_u32 v8, v8, 10, 0x1c00
	v_lshlrev_b32_e32 v3, 7, v3
	s_delay_alu instid0(VALU_DEP_1)
	v_or3_b32 v19, v9, v8, v3
.LBB4_20:
	s_or_b32 exec_lo, exec_lo, s5
	v_lshrrev_b32_e32 v3, 8, v4
	s_mov_b32 s4, 0
	s_mov_b32 s14, exec_lo
                                        ; implicit-def: $sgpr5
	s_delay_alu instid0(VALU_DEP_1) | instskip(NEXT) | instid1(VALU_DEP_1)
	v_and_b32_e32 v8, 0xff, v3
	v_cmpx_lt_i16_e32 0x7f, v8
	s_xor_b32 s14, exec_lo, s14
	s_cbranch_execnz .LBB4_149
; %bb.21:
	s_or_saveexec_b32 s14, s14
	v_mov_b32_e32 v20, s5
	s_xor_b32 exec_lo, exec_lo, s14
	s_cbranch_execnz .LBB4_152
.LBB4_22:
	s_or_b32 exec_lo, exec_lo, s14
	s_and_saveexec_b32 s5, s4
	s_cbranch_execz .LBB4_24
.LBB4_23:
	v_bfe_u32 v8, v4, 8, 3
	v_lshrrev_b16 v10, 3, v3
	s_delay_alu instid0(VALU_DEP_2) | instskip(NEXT) | instid1(VALU_DEP_1)
	v_clz_i32_u32_e32 v9, v8
	v_min_u32_e32 v9, 32, v9
	s_delay_alu instid0(VALU_DEP_1) | instskip(SKIP_2) | instid1(VALU_DEP_3)
	v_subrev_nc_u32_e32 v11, 28, v9
	v_sub_nc_u32_e32 v9, 29, v9
	v_and_b32_e32 v10, 15, v10
	v_lshlrev_b32_e32 v11, v11, v3
	s_delay_alu instid0(VALU_DEP_2) | instskip(SKIP_2) | instid1(VALU_DEP_4)
	v_and_b32_e32 v12, 0xffff, v10
	v_cmp_eq_u16_e32 vcc_lo, 0, v10
	v_and_b32_e32 v10, 0x8000, v4
	v_and_b32_e32 v11, 7, v11
	s_delay_alu instid0(VALU_DEP_4) | instskip(NEXT) | instid1(VALU_DEP_2)
	v_cndmask_b32_e32 v9, v12, v9, vcc_lo
	v_cndmask_b32_e32 v8, v8, v11, vcc_lo
	s_delay_alu instid0(VALU_DEP_2) | instskip(NEXT) | instid1(VALU_DEP_2)
	v_lshl_add_u32 v9, v9, 10, 0x1c00
	v_lshlrev_b32_e32 v8, 7, v8
	s_delay_alu instid0(VALU_DEP_1)
	v_or3_b32 v20, v10, v9, v8
.LBB4_24:
	s_or_b32 exec_lo, exec_lo, s5
	v_lshrrev_b32_e32 v8, 16, v4
	s_mov_b32 s4, 0
	s_mov_b32 s14, exec_lo
                                        ; implicit-def: $sgpr5
	s_delay_alu instid0(VALU_DEP_1) | instskip(NEXT) | instid1(VALU_DEP_1)
	v_and_b32_e32 v9, 0xff, v8
	v_cmpx_lt_i16_e32 0x7f, v9
	s_xor_b32 s14, exec_lo, s14
	s_cbranch_execnz .LBB4_153
; %bb.25:
	s_or_saveexec_b32 s14, s14
	v_mov_b32_e32 v21, s5
	s_xor_b32 exec_lo, exec_lo, s14
	s_cbranch_execnz .LBB4_156
.LBB4_26:
	s_or_b32 exec_lo, exec_lo, s14
	s_and_saveexec_b32 s5, s4
	s_cbranch_execz .LBB4_28
.LBB4_27:
	v_bfe_u32 v9, v4, 16, 3
	v_lshrrev_b32_e32 v12, 19, v4
	v_bfe_u32 v13, v4, 19, 4
	v_and_b32_e32 v3, 0x8000, v3
	s_delay_alu instid0(VALU_DEP_4) | instskip(NEXT) | instid1(VALU_DEP_4)
	v_clz_i32_u32_e32 v10, v9
	v_and_b32_e32 v12, 15, v12
	s_delay_alu instid0(VALU_DEP_2) | instskip(NEXT) | instid1(VALU_DEP_2)
	v_min_u32_e32 v10, 32, v10
	v_cmp_eq_u16_e32 vcc_lo, 0, v12
	s_delay_alu instid0(VALU_DEP_2) | instskip(SKIP_1) | instid1(VALU_DEP_1)
	v_subrev_nc_u32_e32 v11, 28, v10
	v_sub_nc_u32_e32 v10, 29, v10
	v_dual_cndmask_b32 v10, v13, v10 :: v_dual_lshlrev_b32 v11, v11, v8
	s_delay_alu instid0(VALU_DEP_1) | instskip(NEXT) | instid1(VALU_DEP_2)
	v_and_b32_e32 v11, 7, v11
	v_lshl_add_u32 v10, v10, 10, 0x1c00
	s_delay_alu instid0(VALU_DEP_2) | instskip(NEXT) | instid1(VALU_DEP_1)
	v_cndmask_b32_e32 v9, v9, v11, vcc_lo
	v_lshlrev_b32_e32 v9, 7, v9
	s_delay_alu instid0(VALU_DEP_1)
	v_or3_b32 v21, v3, v10, v9
.LBB4_28:
	s_or_b32 exec_lo, exec_lo, s5
	v_lshrrev_b32_e32 v3, 24, v4
	s_mov_b32 s4, 0
	s_mov_b32 s14, exec_lo
                                        ; implicit-def: $sgpr5
	s_delay_alu instid0(VALU_DEP_1)
	v_cmpx_lt_i16_e32 0x7f, v3
	s_xor_b32 s14, exec_lo, s14
	s_cbranch_execnz .LBB4_157
; %bb.29:
	s_or_saveexec_b32 s14, s14
	v_mov_b32_e32 v22, s5
	s_xor_b32 exec_lo, exec_lo, s14
	s_cbranch_execnz .LBB4_160
.LBB4_30:
	s_or_b32 exec_lo, exec_lo, s14
	s_and_saveexec_b32 s5, s4
	s_cbranch_execz .LBB4_32
.LBB4_31:
	v_bfe_u32 v9, v4, 24, 3
	v_lshrrev_b32_e32 v12, 27, v4
	v_bfe_u32 v4, v4, 27, 4
	v_and_b32_e32 v8, 0x8000, v8
	s_delay_alu instid0(VALU_DEP_4) | instskip(NEXT) | instid1(VALU_DEP_1)
	v_clz_i32_u32_e32 v10, v9
	v_min_u32_e32 v10, 32, v10
	s_delay_alu instid0(VALU_DEP_1) | instskip(SKIP_1) | instid1(VALU_DEP_2)
	v_subrev_nc_u32_e32 v11, 28, v10
	v_sub_nc_u32_e32 v10, 29, v10
	v_lshlrev_b32_e32 v3, v11, v3
	v_and_b32_e32 v11, 15, v12
	s_delay_alu instid0(VALU_DEP_1) | instskip(NEXT) | instid1(VALU_DEP_3)
	v_cmp_eq_u16_e32 vcc_lo, 0, v11
	v_dual_cndmask_b32 v4, v4, v10 :: v_dual_and_b32 v3, 7, v3
	s_delay_alu instid0(VALU_DEP_1) | instskip(NEXT) | instid1(VALU_DEP_2)
	v_lshl_add_u32 v4, v4, 10, 0x1c00
	v_cndmask_b32_e32 v3, v9, v3, vcc_lo
	s_delay_alu instid0(VALU_DEP_1) | instskip(NEXT) | instid1(VALU_DEP_1)
	v_lshlrev_b32_e32 v3, 7, v3
	v_or3_b32 v22, v8, v4, v3
.LBB4_32:
	s_or_b32 exec_lo, exec_lo, s5
	v_add_nc_u32_e32 v8, s11, v2
	s_mov_b32 s4, 0
	s_mov_b32 s14, exec_lo
                                        ; implicit-def: $sgpr5
	buffer_load_b64 v[2:3], v8, s[0:3], 0 offen
	s_waitcnt vmcnt(0)
	v_and_b32_e32 v9, 0xff, v2
	s_delay_alu instid0(VALU_DEP_1)
	v_cmpx_lt_i16_e32 0x7f, v9
	s_xor_b32 s14, exec_lo, s14
	s_cbranch_execnz .LBB4_161
; %bb.33:
	s_or_saveexec_b32 s14, s14
	v_mov_b32_e32 v4, s5
	s_xor_b32 exec_lo, exec_lo, s14
	s_cbranch_execnz .LBB4_164
.LBB4_34:
	s_or_b32 exec_lo, exec_lo, s14
	s_and_saveexec_b32 s5, s4
	s_cbranch_execz .LBB4_36
.LBB4_35:
	v_lshrrev_b16 v10, 3, v2
	s_delay_alu instid0(VALU_DEP_1) | instskip(NEXT) | instid1(VALU_DEP_1)
	v_and_b32_e32 v10, 15, v10
	v_and_b32_e32 v12, 0xffff, v10
	v_cmp_eq_u16_e32 vcc_lo, 0, v10
	v_and_b32_e32 v4, 7, v2
	v_lshlrev_b32_e32 v10, 8, v2
	s_delay_alu instid0(VALU_DEP_2) | instskip(NEXT) | instid1(VALU_DEP_2)
	v_clz_i32_u32_e32 v9, v4
	v_and_b32_e32 v10, 0x8000, v10
	s_delay_alu instid0(VALU_DEP_2) | instskip(NEXT) | instid1(VALU_DEP_1)
	v_min_u32_e32 v9, 32, v9
	v_subrev_nc_u32_e32 v11, 28, v9
	v_sub_nc_u32_e32 v9, 29, v9
	s_delay_alu instid0(VALU_DEP_2) | instskip(NEXT) | instid1(VALU_DEP_2)
	v_lshlrev_b32_e32 v11, v11, v2
	v_cndmask_b32_e32 v9, v12, v9, vcc_lo
	s_delay_alu instid0(VALU_DEP_2) | instskip(NEXT) | instid1(VALU_DEP_2)
	v_and_b32_e32 v11, 7, v11
	v_lshl_add_u32 v9, v9, 10, 0x1c00
	s_delay_alu instid0(VALU_DEP_2) | instskip(NEXT) | instid1(VALU_DEP_1)
	v_cndmask_b32_e32 v4, v4, v11, vcc_lo
	v_lshlrev_b32_e32 v4, 7, v4
	s_delay_alu instid0(VALU_DEP_1)
	v_or3_b32 v4, v10, v9, v4
.LBB4_36:
	s_or_b32 exec_lo, exec_lo, s5
	v_lshrrev_b32_e32 v9, 8, v2
	s_mov_b32 s4, 0
	s_mov_b32 s14, exec_lo
                                        ; implicit-def: $sgpr5
	s_delay_alu instid0(VALU_DEP_1) | instskip(NEXT) | instid1(VALU_DEP_1)
	v_and_b32_e32 v10, 0xff, v9
	v_cmpx_lt_i16_e32 0x7f, v10
	s_xor_b32 s14, exec_lo, s14
	s_cbranch_execnz .LBB4_165
; %bb.37:
	s_or_saveexec_b32 s14, s14
	v_mov_b32_e32 v23, s5
	s_xor_b32 exec_lo, exec_lo, s14
	s_cbranch_execnz .LBB4_168
.LBB4_38:
	s_or_b32 exec_lo, exec_lo, s14
	s_and_saveexec_b32 s5, s4
	s_cbranch_execz .LBB4_40
.LBB4_39:
	v_bfe_u32 v10, v2, 8, 3
	v_lshrrev_b16 v12, 3, v9
	s_delay_alu instid0(VALU_DEP_2) | instskip(NEXT) | instid1(VALU_DEP_1)
	v_clz_i32_u32_e32 v11, v10
	v_min_u32_e32 v11, 32, v11
	s_delay_alu instid0(VALU_DEP_1) | instskip(SKIP_2) | instid1(VALU_DEP_3)
	v_subrev_nc_u32_e32 v13, 28, v11
	v_sub_nc_u32_e32 v11, 29, v11
	v_and_b32_e32 v12, 15, v12
	v_lshlrev_b32_e32 v13, v13, v9
	s_delay_alu instid0(VALU_DEP_2) | instskip(SKIP_2) | instid1(VALU_DEP_4)
	v_and_b32_e32 v14, 0xffff, v12
	v_cmp_eq_u16_e32 vcc_lo, 0, v12
	v_and_b32_e32 v12, 0x8000, v2
	v_and_b32_e32 v13, 7, v13
	s_delay_alu instid0(VALU_DEP_4) | instskip(NEXT) | instid1(VALU_DEP_2)
	v_cndmask_b32_e32 v11, v14, v11, vcc_lo
	v_cndmask_b32_e32 v10, v10, v13, vcc_lo
	s_delay_alu instid0(VALU_DEP_2) | instskip(NEXT) | instid1(VALU_DEP_2)
	v_lshl_add_u32 v11, v11, 10, 0x1c00
	v_lshlrev_b32_e32 v10, 7, v10
	s_delay_alu instid0(VALU_DEP_1)
	v_or3_b32 v23, v12, v11, v10
.LBB4_40:
	s_or_b32 exec_lo, exec_lo, s5
	v_lshrrev_b32_e32 v10, 16, v2
	s_mov_b32 s4, 0
	s_mov_b32 s14, exec_lo
                                        ; implicit-def: $sgpr5
	s_delay_alu instid0(VALU_DEP_1) | instskip(NEXT) | instid1(VALU_DEP_1)
	v_and_b32_e32 v11, 0xff, v10
	v_cmpx_lt_i16_e32 0x7f, v11
	s_xor_b32 s14, exec_lo, s14
	s_cbranch_execnz .LBB4_169
; %bb.41:
	s_or_saveexec_b32 s14, s14
	v_mov_b32_e32 v24, s5
	s_xor_b32 exec_lo, exec_lo, s14
	s_cbranch_execnz .LBB4_172
.LBB4_42:
	s_or_b32 exec_lo, exec_lo, s14
	s_and_saveexec_b32 s5, s4
	s_cbranch_execz .LBB4_44
.LBB4_43:
	v_bfe_u32 v11, v2, 16, 3
	v_lshrrev_b32_e32 v14, 19, v2
	v_bfe_u32 v15, v2, 19, 4
	v_and_b32_e32 v9, 0x8000, v9
	s_delay_alu instid0(VALU_DEP_4) | instskip(NEXT) | instid1(VALU_DEP_4)
	v_clz_i32_u32_e32 v12, v11
	v_and_b32_e32 v14, 15, v14
	s_delay_alu instid0(VALU_DEP_2) | instskip(NEXT) | instid1(VALU_DEP_2)
	v_min_u32_e32 v12, 32, v12
	v_cmp_eq_u16_e32 vcc_lo, 0, v14
	s_delay_alu instid0(VALU_DEP_2) | instskip(SKIP_1) | instid1(VALU_DEP_1)
	v_subrev_nc_u32_e32 v13, 28, v12
	v_sub_nc_u32_e32 v12, 29, v12
	v_dual_cndmask_b32 v12, v15, v12 :: v_dual_lshlrev_b32 v13, v13, v10
	s_delay_alu instid0(VALU_DEP_1) | instskip(NEXT) | instid1(VALU_DEP_2)
	v_and_b32_e32 v13, 7, v13
	v_lshl_add_u32 v12, v12, 10, 0x1c00
	s_delay_alu instid0(VALU_DEP_2) | instskip(NEXT) | instid1(VALU_DEP_1)
	v_cndmask_b32_e32 v11, v11, v13, vcc_lo
	v_lshlrev_b32_e32 v11, 7, v11
	s_delay_alu instid0(VALU_DEP_1)
	v_or3_b32 v24, v9, v12, v11
.LBB4_44:
	s_or_b32 exec_lo, exec_lo, s5
	v_lshrrev_b32_e32 v9, 24, v2
	s_mov_b32 s4, 0
	s_mov_b32 s14, exec_lo
                                        ; implicit-def: $sgpr5
	s_delay_alu instid0(VALU_DEP_1)
	v_cmpx_lt_i16_e32 0x7f, v9
	s_xor_b32 s14, exec_lo, s14
	s_cbranch_execnz .LBB4_173
; %bb.45:
	s_or_saveexec_b32 s14, s14
	v_mov_b32_e32 v25, s5
	s_xor_b32 exec_lo, exec_lo, s14
	s_cbranch_execnz .LBB4_176
.LBB4_46:
	s_or_b32 exec_lo, exec_lo, s14
	s_and_saveexec_b32 s5, s4
	s_cbranch_execz .LBB4_48
.LBB4_47:
	v_bfe_u32 v11, v2, 24, 3
	v_lshrrev_b32_e32 v14, 27, v2
	v_bfe_u32 v2, v2, 27, 4
	v_and_b32_e32 v10, 0x8000, v10
	s_delay_alu instid0(VALU_DEP_4) | instskip(NEXT) | instid1(VALU_DEP_1)
	v_clz_i32_u32_e32 v12, v11
	v_min_u32_e32 v12, 32, v12
	s_delay_alu instid0(VALU_DEP_1) | instskip(SKIP_1) | instid1(VALU_DEP_2)
	v_subrev_nc_u32_e32 v13, 28, v12
	v_sub_nc_u32_e32 v12, 29, v12
	v_lshlrev_b32_e32 v9, v13, v9
	v_and_b32_e32 v13, 15, v14
	s_delay_alu instid0(VALU_DEP_1) | instskip(NEXT) | instid1(VALU_DEP_3)
	v_cmp_eq_u16_e32 vcc_lo, 0, v13
	v_dual_cndmask_b32 v2, v2, v12 :: v_dual_and_b32 v9, 7, v9
	s_delay_alu instid0(VALU_DEP_1) | instskip(NEXT) | instid1(VALU_DEP_2)
	v_lshl_add_u32 v2, v2, 10, 0x1c00
	v_cndmask_b32_e32 v9, v11, v9, vcc_lo
	s_delay_alu instid0(VALU_DEP_1) | instskip(NEXT) | instid1(VALU_DEP_1)
	v_lshlrev_b32_e32 v9, 7, v9
	v_or3_b32 v25, v10, v2, v9
.LBB4_48:
	s_or_b32 exec_lo, exec_lo, s5
	v_and_b32_e32 v2, 0xff, v3
	s_mov_b32 s4, 0
	s_mov_b32 s14, exec_lo
                                        ; implicit-def: $sgpr5
	s_delay_alu instid0(VALU_DEP_1)
	v_cmpx_lt_i16_e32 0x7f, v2
	s_xor_b32 s14, exec_lo, s14
	s_cbranch_execnz .LBB4_177
; %bb.49:
	s_or_saveexec_b32 s14, s14
	v_mov_b32_e32 v26, s5
	s_xor_b32 exec_lo, exec_lo, s14
	s_cbranch_execnz .LBB4_180
.LBB4_50:
	s_or_b32 exec_lo, exec_lo, s14
	s_and_saveexec_b32 s5, s4
	s_cbranch_execz .LBB4_52
.LBB4_51:
	v_lshrrev_b16 v10, 3, v3
	s_delay_alu instid0(VALU_DEP_1) | instskip(NEXT) | instid1(VALU_DEP_1)
	v_and_b32_e32 v10, 15, v10
	v_and_b32_e32 v12, 0xffff, v10
	v_cmp_eq_u16_e32 vcc_lo, 0, v10
	v_and_b32_e32 v2, 7, v3
	v_lshlrev_b32_e32 v10, 8, v3
	s_delay_alu instid0(VALU_DEP_2) | instskip(NEXT) | instid1(VALU_DEP_2)
	v_clz_i32_u32_e32 v9, v2
	v_and_b32_e32 v10, 0x8000, v10
	s_delay_alu instid0(VALU_DEP_2) | instskip(NEXT) | instid1(VALU_DEP_1)
	v_min_u32_e32 v9, 32, v9
	v_subrev_nc_u32_e32 v11, 28, v9
	v_sub_nc_u32_e32 v9, 29, v9
	s_delay_alu instid0(VALU_DEP_2) | instskip(NEXT) | instid1(VALU_DEP_2)
	v_lshlrev_b32_e32 v11, v11, v3
	v_cndmask_b32_e32 v9, v12, v9, vcc_lo
	s_delay_alu instid0(VALU_DEP_2) | instskip(NEXT) | instid1(VALU_DEP_2)
	v_and_b32_e32 v11, 7, v11
	v_lshl_add_u32 v9, v9, 10, 0x1c00
	s_delay_alu instid0(VALU_DEP_2) | instskip(NEXT) | instid1(VALU_DEP_1)
	v_cndmask_b32_e32 v2, v2, v11, vcc_lo
	v_lshlrev_b32_e32 v2, 7, v2
	s_delay_alu instid0(VALU_DEP_1)
	v_or3_b32 v26, v10, v9, v2
.LBB4_52:
	s_or_b32 exec_lo, exec_lo, s5
	v_lshrrev_b32_e32 v2, 8, v3
	s_mov_b32 s4, 0
	s_mov_b32 s14, exec_lo
                                        ; implicit-def: $sgpr5
	s_delay_alu instid0(VALU_DEP_1) | instskip(NEXT) | instid1(VALU_DEP_1)
	v_and_b32_e32 v9, 0xff, v2
	v_cmpx_lt_i16_e32 0x7f, v9
	s_xor_b32 s14, exec_lo, s14
	s_cbranch_execnz .LBB4_181
; %bb.53:
	s_or_saveexec_b32 s14, s14
	v_mov_b32_e32 v27, s5
	s_xor_b32 exec_lo, exec_lo, s14
	s_cbranch_execnz .LBB4_184
.LBB4_54:
	s_or_b32 exec_lo, exec_lo, s14
	s_and_saveexec_b32 s5, s4
	s_cbranch_execz .LBB4_56
.LBB4_55:
	v_bfe_u32 v9, v3, 8, 3
	v_lshrrev_b16 v11, 3, v2
	s_delay_alu instid0(VALU_DEP_2) | instskip(NEXT) | instid1(VALU_DEP_1)
	v_clz_i32_u32_e32 v10, v9
	v_min_u32_e32 v10, 32, v10
	s_delay_alu instid0(VALU_DEP_1) | instskip(SKIP_2) | instid1(VALU_DEP_3)
	v_subrev_nc_u32_e32 v12, 28, v10
	v_sub_nc_u32_e32 v10, 29, v10
	v_and_b32_e32 v11, 15, v11
	v_lshlrev_b32_e32 v12, v12, v2
	s_delay_alu instid0(VALU_DEP_2) | instskip(SKIP_2) | instid1(VALU_DEP_4)
	v_and_b32_e32 v13, 0xffff, v11
	v_cmp_eq_u16_e32 vcc_lo, 0, v11
	v_and_b32_e32 v11, 0x8000, v3
	v_and_b32_e32 v12, 7, v12
	s_delay_alu instid0(VALU_DEP_4) | instskip(NEXT) | instid1(VALU_DEP_2)
	v_cndmask_b32_e32 v10, v13, v10, vcc_lo
	v_cndmask_b32_e32 v9, v9, v12, vcc_lo
	s_delay_alu instid0(VALU_DEP_2) | instskip(NEXT) | instid1(VALU_DEP_2)
	v_lshl_add_u32 v10, v10, 10, 0x1c00
	v_lshlrev_b32_e32 v9, 7, v9
	s_delay_alu instid0(VALU_DEP_1)
	v_or3_b32 v27, v11, v10, v9
.LBB4_56:
	s_or_b32 exec_lo, exec_lo, s5
	v_lshrrev_b32_e32 v9, 16, v3
	s_mov_b32 s4, 0
	s_mov_b32 s14, exec_lo
                                        ; implicit-def: $sgpr5
	s_delay_alu instid0(VALU_DEP_1) | instskip(NEXT) | instid1(VALU_DEP_1)
	v_and_b32_e32 v10, 0xff, v9
	v_cmpx_lt_i16_e32 0x7f, v10
	s_xor_b32 s14, exec_lo, s14
	s_cbranch_execnz .LBB4_185
; %bb.57:
	s_or_saveexec_b32 s14, s14
	v_mov_b32_e32 v28, s5
	s_xor_b32 exec_lo, exec_lo, s14
	s_cbranch_execnz .LBB4_188
.LBB4_58:
	s_or_b32 exec_lo, exec_lo, s14
	s_and_saveexec_b32 s5, s4
	s_cbranch_execz .LBB4_60
.LBB4_59:
	v_bfe_u32 v10, v3, 16, 3
	v_lshrrev_b32_e32 v13, 19, v3
	v_bfe_u32 v14, v3, 19, 4
	v_and_b32_e32 v2, 0x8000, v2
	s_delay_alu instid0(VALU_DEP_4) | instskip(NEXT) | instid1(VALU_DEP_4)
	v_clz_i32_u32_e32 v11, v10
	v_and_b32_e32 v13, 15, v13
	s_delay_alu instid0(VALU_DEP_2) | instskip(NEXT) | instid1(VALU_DEP_2)
	v_min_u32_e32 v11, 32, v11
	v_cmp_eq_u16_e32 vcc_lo, 0, v13
	s_delay_alu instid0(VALU_DEP_2) | instskip(SKIP_1) | instid1(VALU_DEP_1)
	v_subrev_nc_u32_e32 v12, 28, v11
	v_sub_nc_u32_e32 v11, 29, v11
	v_dual_cndmask_b32 v11, v14, v11 :: v_dual_lshlrev_b32 v12, v12, v9
	s_delay_alu instid0(VALU_DEP_1) | instskip(NEXT) | instid1(VALU_DEP_2)
	v_and_b32_e32 v12, 7, v12
	v_lshl_add_u32 v11, v11, 10, 0x1c00
	s_delay_alu instid0(VALU_DEP_2) | instskip(NEXT) | instid1(VALU_DEP_1)
	v_cndmask_b32_e32 v10, v10, v12, vcc_lo
	v_lshlrev_b32_e32 v10, 7, v10
	s_delay_alu instid0(VALU_DEP_1)
	v_or3_b32 v28, v2, v11, v10
.LBB4_60:
	s_or_b32 exec_lo, exec_lo, s5
	v_lshrrev_b32_e32 v2, 24, v3
	s_mov_b32 s4, 0
	s_mov_b32 s14, exec_lo
                                        ; implicit-def: $sgpr5
	s_delay_alu instid0(VALU_DEP_1)
	v_cmpx_lt_i16_e32 0x7f, v2
	s_xor_b32 s14, exec_lo, s14
	s_cbranch_execnz .LBB4_189
; %bb.61:
	s_or_saveexec_b32 s14, s14
	v_mov_b32_e32 v29, s5
	s_xor_b32 exec_lo, exec_lo, s14
	s_cbranch_execnz .LBB4_192
.LBB4_62:
	s_or_b32 exec_lo, exec_lo, s14
	s_and_saveexec_b32 s5, s4
	s_cbranch_execz .LBB4_64
.LBB4_63:
	v_bfe_u32 v10, v3, 24, 3
	v_lshrrev_b32_e32 v13, 27, v3
	v_bfe_u32 v3, v3, 27, 4
	v_and_b32_e32 v9, 0x8000, v9
	s_delay_alu instid0(VALU_DEP_4) | instskip(NEXT) | instid1(VALU_DEP_1)
	v_clz_i32_u32_e32 v11, v10
	v_min_u32_e32 v11, 32, v11
	s_delay_alu instid0(VALU_DEP_1) | instskip(SKIP_1) | instid1(VALU_DEP_2)
	v_subrev_nc_u32_e32 v12, 28, v11
	v_sub_nc_u32_e32 v11, 29, v11
	v_lshlrev_b32_e32 v2, v12, v2
	v_and_b32_e32 v12, 15, v13
	s_delay_alu instid0(VALU_DEP_1) | instskip(NEXT) | instid1(VALU_DEP_3)
	v_cmp_eq_u16_e32 vcc_lo, 0, v12
	v_dual_cndmask_b32 v3, v3, v11 :: v_dual_and_b32 v2, 7, v2
	s_delay_alu instid0(VALU_DEP_1) | instskip(NEXT) | instid1(VALU_DEP_2)
	v_lshl_add_u32 v3, v3, 10, 0x1c00
	v_cndmask_b32_e32 v2, v10, v2, vcc_lo
	s_delay_alu instid0(VALU_DEP_1) | instskip(NEXT) | instid1(VALU_DEP_1)
	v_lshlrev_b32_e32 v2, 7, v2
	v_or3_b32 v29, v9, v3, v2
.LBB4_64:
	s_or_b32 exec_lo, exec_lo, s5
	v_add_nc_u32_e32 v8, s11, v8
	s_mov_b32 s4, 0
	s_mov_b32 s14, exec_lo
                                        ; implicit-def: $sgpr5
	buffer_load_b64 v[2:3], v8, s[0:3], 0 offen
	s_waitcnt vmcnt(0)
	v_and_b32_e32 v9, 0xff, v2
	s_delay_alu instid0(VALU_DEP_1)
	v_cmpx_lt_i16_e32 0x7f, v9
	s_xor_b32 s14, exec_lo, s14
	s_cbranch_execnz .LBB4_193
; %bb.65:
	s_or_saveexec_b32 s14, s14
	v_mov_b32_e32 v30, s5
	s_xor_b32 exec_lo, exec_lo, s14
	s_cbranch_execnz .LBB4_196
.LBB4_66:
	s_or_b32 exec_lo, exec_lo, s14
	s_and_saveexec_b32 s5, s4
	s_cbranch_execz .LBB4_68
.LBB4_67:
	v_and_b32_e32 v9, 7, v2
	v_lshrrev_b16 v11, 3, v2
	s_delay_alu instid0(VALU_DEP_2) | instskip(NEXT) | instid1(VALU_DEP_1)
	v_clz_i32_u32_e32 v10, v9
	v_min_u32_e32 v10, 32, v10
	s_delay_alu instid0(VALU_DEP_1) | instskip(SKIP_2) | instid1(VALU_DEP_3)
	v_subrev_nc_u32_e32 v12, 28, v10
	v_sub_nc_u32_e32 v10, 29, v10
	v_and_b32_e32 v11, 15, v11
	v_lshlrev_b32_e32 v12, v12, v2
	s_delay_alu instid0(VALU_DEP_2) | instskip(SKIP_2) | instid1(VALU_DEP_4)
	v_and_b32_e32 v13, 0xffff, v11
	v_cmp_eq_u16_e32 vcc_lo, 0, v11
	v_lshlrev_b32_e32 v11, 8, v2
	v_and_b32_e32 v12, 7, v12
	s_delay_alu instid0(VALU_DEP_2) | instskip(NEXT) | instid1(VALU_DEP_2)
	v_dual_cndmask_b32 v10, v13, v10 :: v_dual_and_b32 v11, 0x8000, v11
	v_cndmask_b32_e32 v9, v9, v12, vcc_lo
	s_delay_alu instid0(VALU_DEP_2) | instskip(NEXT) | instid1(VALU_DEP_2)
	v_lshl_add_u32 v10, v10, 10, 0x1c00
	v_lshlrev_b32_e32 v9, 7, v9
	s_delay_alu instid0(VALU_DEP_1)
	v_or3_b32 v30, v11, v10, v9
.LBB4_68:
	s_or_b32 exec_lo, exec_lo, s5
	v_lshrrev_b32_e32 v9, 8, v2
	s_mov_b32 s4, 0
	s_mov_b32 s14, exec_lo
                                        ; implicit-def: $sgpr5
	s_delay_alu instid0(VALU_DEP_1) | instskip(NEXT) | instid1(VALU_DEP_1)
	v_and_b32_e32 v10, 0xff, v9
	v_cmpx_lt_i16_e32 0x7f, v10
	s_xor_b32 s14, exec_lo, s14
	s_cbranch_execnz .LBB4_197
; %bb.69:
	s_or_saveexec_b32 s14, s14
	v_mov_b32_e32 v31, s5
	s_xor_b32 exec_lo, exec_lo, s14
	s_cbranch_execnz .LBB4_200
.LBB4_70:
	s_or_b32 exec_lo, exec_lo, s14
	s_and_saveexec_b32 s5, s4
	s_cbranch_execz .LBB4_72
.LBB4_71:
	v_bfe_u32 v10, v2, 8, 3
	v_lshrrev_b16 v12, 3, v9
	s_delay_alu instid0(VALU_DEP_2) | instskip(NEXT) | instid1(VALU_DEP_1)
	v_clz_i32_u32_e32 v11, v10
	v_min_u32_e32 v11, 32, v11
	s_delay_alu instid0(VALU_DEP_1) | instskip(SKIP_2) | instid1(VALU_DEP_3)
	v_subrev_nc_u32_e32 v13, 28, v11
	v_sub_nc_u32_e32 v11, 29, v11
	v_and_b32_e32 v12, 15, v12
	v_lshlrev_b32_e32 v13, v13, v9
	s_delay_alu instid0(VALU_DEP_2) | instskip(SKIP_2) | instid1(VALU_DEP_4)
	v_and_b32_e32 v14, 0xffff, v12
	v_cmp_eq_u16_e32 vcc_lo, 0, v12
	v_and_b32_e32 v12, 0x8000, v2
	v_and_b32_e32 v13, 7, v13
	s_delay_alu instid0(VALU_DEP_4) | instskip(NEXT) | instid1(VALU_DEP_2)
	v_cndmask_b32_e32 v11, v14, v11, vcc_lo
	v_cndmask_b32_e32 v10, v10, v13, vcc_lo
	s_delay_alu instid0(VALU_DEP_2) | instskip(NEXT) | instid1(VALU_DEP_2)
	v_lshl_add_u32 v11, v11, 10, 0x1c00
	v_lshlrev_b32_e32 v10, 7, v10
	s_delay_alu instid0(VALU_DEP_1)
	v_or3_b32 v31, v12, v11, v10
.LBB4_72:
	s_or_b32 exec_lo, exec_lo, s5
	v_lshrrev_b32_e32 v10, 16, v2
	s_mov_b32 s4, 0
	s_mov_b32 s14, exec_lo
                                        ; implicit-def: $sgpr5
	s_delay_alu instid0(VALU_DEP_1) | instskip(NEXT) | instid1(VALU_DEP_1)
	v_and_b32_e32 v11, 0xff, v10
	v_cmpx_lt_i16_e32 0x7f, v11
	s_xor_b32 s14, exec_lo, s14
	s_cbranch_execnz .LBB4_201
; %bb.73:
	s_or_saveexec_b32 s14, s14
	v_mov_b32_e32 v32, s5
	s_xor_b32 exec_lo, exec_lo, s14
	s_cbranch_execnz .LBB4_204
.LBB4_74:
	s_or_b32 exec_lo, exec_lo, s14
	s_and_saveexec_b32 s5, s4
	s_cbranch_execz .LBB4_76
.LBB4_75:
	v_bfe_u32 v11, v2, 16, 3
	v_lshrrev_b32_e32 v14, 19, v2
	v_bfe_u32 v15, v2, 19, 4
	v_and_b32_e32 v9, 0x8000, v9
	s_delay_alu instid0(VALU_DEP_4) | instskip(NEXT) | instid1(VALU_DEP_4)
	v_clz_i32_u32_e32 v12, v11
	v_and_b32_e32 v14, 15, v14
	s_delay_alu instid0(VALU_DEP_2) | instskip(NEXT) | instid1(VALU_DEP_2)
	v_min_u32_e32 v12, 32, v12
	v_cmp_eq_u16_e32 vcc_lo, 0, v14
	s_delay_alu instid0(VALU_DEP_2) | instskip(SKIP_1) | instid1(VALU_DEP_1)
	v_subrev_nc_u32_e32 v13, 28, v12
	v_sub_nc_u32_e32 v12, 29, v12
	v_dual_cndmask_b32 v12, v15, v12 :: v_dual_lshlrev_b32 v13, v13, v10
	s_delay_alu instid0(VALU_DEP_1) | instskip(NEXT) | instid1(VALU_DEP_2)
	v_and_b32_e32 v13, 7, v13
	v_lshl_add_u32 v12, v12, 10, 0x1c00
	s_delay_alu instid0(VALU_DEP_2) | instskip(NEXT) | instid1(VALU_DEP_1)
	v_cndmask_b32_e32 v11, v11, v13, vcc_lo
	v_lshlrev_b32_e32 v11, 7, v11
	s_delay_alu instid0(VALU_DEP_1)
	v_or3_b32 v32, v9, v12, v11
.LBB4_76:
	s_or_b32 exec_lo, exec_lo, s5
	v_lshrrev_b32_e32 v9, 24, v2
	s_mov_b32 s4, 0
	s_mov_b32 s14, exec_lo
                                        ; implicit-def: $sgpr5
	s_delay_alu instid0(VALU_DEP_1)
	v_cmpx_lt_i16_e32 0x7f, v9
	s_xor_b32 s14, exec_lo, s14
	s_cbranch_execnz .LBB4_205
; %bb.77:
	s_or_saveexec_b32 s14, s14
	v_mov_b32_e32 v33, s5
	s_xor_b32 exec_lo, exec_lo, s14
	s_cbranch_execnz .LBB4_208
.LBB4_78:
	s_or_b32 exec_lo, exec_lo, s14
	s_and_saveexec_b32 s5, s4
	s_cbranch_execz .LBB4_80
.LBB4_79:
	v_bfe_u32 v11, v2, 24, 3
	v_lshrrev_b32_e32 v14, 27, v2
	v_bfe_u32 v2, v2, 27, 4
	v_and_b32_e32 v10, 0x8000, v10
	s_delay_alu instid0(VALU_DEP_4) | instskip(NEXT) | instid1(VALU_DEP_1)
	v_clz_i32_u32_e32 v12, v11
	v_min_u32_e32 v12, 32, v12
	s_delay_alu instid0(VALU_DEP_1) | instskip(SKIP_1) | instid1(VALU_DEP_2)
	v_subrev_nc_u32_e32 v13, 28, v12
	v_sub_nc_u32_e32 v12, 29, v12
	v_lshlrev_b32_e32 v9, v13, v9
	v_and_b32_e32 v13, 15, v14
	s_delay_alu instid0(VALU_DEP_1) | instskip(NEXT) | instid1(VALU_DEP_3)
	v_cmp_eq_u16_e32 vcc_lo, 0, v13
	v_dual_cndmask_b32 v2, v2, v12 :: v_dual_and_b32 v9, 7, v9
	s_delay_alu instid0(VALU_DEP_1) | instskip(NEXT) | instid1(VALU_DEP_2)
	v_lshl_add_u32 v2, v2, 10, 0x1c00
	v_cndmask_b32_e32 v9, v11, v9, vcc_lo
	s_delay_alu instid0(VALU_DEP_1) | instskip(NEXT) | instid1(VALU_DEP_1)
	v_lshlrev_b32_e32 v9, 7, v9
	v_or3_b32 v33, v10, v2, v9
.LBB4_80:
	s_or_b32 exec_lo, exec_lo, s5
	v_and_b32_e32 v2, 0xff, v3
	s_mov_b32 s4, 0
	s_mov_b32 s14, exec_lo
                                        ; implicit-def: $sgpr5
	s_delay_alu instid0(VALU_DEP_1)
	v_cmpx_lt_i16_e32 0x7f, v2
	s_xor_b32 s14, exec_lo, s14
	s_cbranch_execnz .LBB4_209
; %bb.81:
	s_or_saveexec_b32 s14, s14
	v_mov_b32_e32 v34, s5
	s_xor_b32 exec_lo, exec_lo, s14
	s_cbranch_execnz .LBB4_212
.LBB4_82:
	s_or_b32 exec_lo, exec_lo, s14
	s_and_saveexec_b32 s5, s4
	s_cbranch_execz .LBB4_84
.LBB4_83:
	v_lshrrev_b16 v10, 3, v3
	s_delay_alu instid0(VALU_DEP_1) | instskip(NEXT) | instid1(VALU_DEP_1)
	v_and_b32_e32 v10, 15, v10
	v_and_b32_e32 v12, 0xffff, v10
	v_cmp_eq_u16_e32 vcc_lo, 0, v10
	v_and_b32_e32 v2, 7, v3
	v_lshlrev_b32_e32 v10, 8, v3
	s_delay_alu instid0(VALU_DEP_2) | instskip(NEXT) | instid1(VALU_DEP_2)
	v_clz_i32_u32_e32 v9, v2
	v_and_b32_e32 v10, 0x8000, v10
	s_delay_alu instid0(VALU_DEP_2) | instskip(NEXT) | instid1(VALU_DEP_1)
	v_min_u32_e32 v9, 32, v9
	v_subrev_nc_u32_e32 v11, 28, v9
	v_sub_nc_u32_e32 v9, 29, v9
	s_delay_alu instid0(VALU_DEP_2) | instskip(NEXT) | instid1(VALU_DEP_2)
	v_lshlrev_b32_e32 v11, v11, v3
	v_cndmask_b32_e32 v9, v12, v9, vcc_lo
	s_delay_alu instid0(VALU_DEP_2) | instskip(NEXT) | instid1(VALU_DEP_2)
	v_and_b32_e32 v11, 7, v11
	v_lshl_add_u32 v9, v9, 10, 0x1c00
	s_delay_alu instid0(VALU_DEP_2) | instskip(NEXT) | instid1(VALU_DEP_1)
	v_cndmask_b32_e32 v2, v2, v11, vcc_lo
	v_lshlrev_b32_e32 v2, 7, v2
	s_delay_alu instid0(VALU_DEP_1)
	v_or3_b32 v34, v10, v9, v2
.LBB4_84:
	s_or_b32 exec_lo, exec_lo, s5
	v_lshrrev_b32_e32 v2, 8, v3
	s_mov_b32 s4, 0
	s_mov_b32 s14, exec_lo
                                        ; implicit-def: $sgpr5
	s_delay_alu instid0(VALU_DEP_1) | instskip(NEXT) | instid1(VALU_DEP_1)
	v_and_b32_e32 v9, 0xff, v2
	v_cmpx_lt_i16_e32 0x7f, v9
	s_xor_b32 s14, exec_lo, s14
	s_cbranch_execnz .LBB4_213
; %bb.85:
	s_or_saveexec_b32 s14, s14
	v_mov_b32_e32 v35, s5
	s_xor_b32 exec_lo, exec_lo, s14
	s_cbranch_execnz .LBB4_216
.LBB4_86:
	s_or_b32 exec_lo, exec_lo, s14
	s_and_saveexec_b32 s5, s4
	s_cbranch_execz .LBB4_88
.LBB4_87:
	v_bfe_u32 v9, v3, 8, 3
	v_lshrrev_b16 v11, 3, v2
	s_delay_alu instid0(VALU_DEP_2) | instskip(NEXT) | instid1(VALU_DEP_1)
	v_clz_i32_u32_e32 v10, v9
	v_min_u32_e32 v10, 32, v10
	s_delay_alu instid0(VALU_DEP_1) | instskip(SKIP_2) | instid1(VALU_DEP_3)
	v_subrev_nc_u32_e32 v12, 28, v10
	v_sub_nc_u32_e32 v10, 29, v10
	v_and_b32_e32 v11, 15, v11
	v_lshlrev_b32_e32 v12, v12, v2
	s_delay_alu instid0(VALU_DEP_2) | instskip(SKIP_2) | instid1(VALU_DEP_4)
	v_and_b32_e32 v13, 0xffff, v11
	v_cmp_eq_u16_e32 vcc_lo, 0, v11
	v_and_b32_e32 v11, 0x8000, v3
	v_and_b32_e32 v12, 7, v12
	s_delay_alu instid0(VALU_DEP_4) | instskip(NEXT) | instid1(VALU_DEP_2)
	v_cndmask_b32_e32 v10, v13, v10, vcc_lo
	v_cndmask_b32_e32 v9, v9, v12, vcc_lo
	s_delay_alu instid0(VALU_DEP_2) | instskip(NEXT) | instid1(VALU_DEP_2)
	v_lshl_add_u32 v10, v10, 10, 0x1c00
	v_lshlrev_b32_e32 v9, 7, v9
	s_delay_alu instid0(VALU_DEP_1)
	v_or3_b32 v35, v11, v10, v9
.LBB4_88:
	s_or_b32 exec_lo, exec_lo, s5
	v_lshrrev_b32_e32 v9, 16, v3
	s_mov_b32 s4, 0
	s_mov_b32 s14, exec_lo
                                        ; implicit-def: $sgpr5
	s_delay_alu instid0(VALU_DEP_1) | instskip(NEXT) | instid1(VALU_DEP_1)
	v_and_b32_e32 v10, 0xff, v9
	v_cmpx_lt_i16_e32 0x7f, v10
	s_xor_b32 s14, exec_lo, s14
	s_cbranch_execnz .LBB4_217
; %bb.89:
	s_or_saveexec_b32 s14, s14
	v_mov_b32_e32 v36, s5
	s_xor_b32 exec_lo, exec_lo, s14
	s_cbranch_execnz .LBB4_220
.LBB4_90:
	s_or_b32 exec_lo, exec_lo, s14
	s_and_saveexec_b32 s5, s4
	s_cbranch_execz .LBB4_92
.LBB4_91:
	v_bfe_u32 v10, v3, 16, 3
	v_lshrrev_b32_e32 v13, 19, v3
	v_bfe_u32 v14, v3, 19, 4
	v_and_b32_e32 v2, 0x8000, v2
	s_delay_alu instid0(VALU_DEP_4) | instskip(NEXT) | instid1(VALU_DEP_4)
	v_clz_i32_u32_e32 v11, v10
	v_and_b32_e32 v13, 15, v13
	s_delay_alu instid0(VALU_DEP_2) | instskip(NEXT) | instid1(VALU_DEP_2)
	v_min_u32_e32 v11, 32, v11
	v_cmp_eq_u16_e32 vcc_lo, 0, v13
	s_delay_alu instid0(VALU_DEP_2) | instskip(SKIP_1) | instid1(VALU_DEP_1)
	v_subrev_nc_u32_e32 v12, 28, v11
	v_sub_nc_u32_e32 v11, 29, v11
	v_dual_cndmask_b32 v11, v14, v11 :: v_dual_lshlrev_b32 v12, v12, v9
	s_delay_alu instid0(VALU_DEP_1) | instskip(NEXT) | instid1(VALU_DEP_2)
	v_and_b32_e32 v12, 7, v12
	v_lshl_add_u32 v11, v11, 10, 0x1c00
	s_delay_alu instid0(VALU_DEP_2) | instskip(NEXT) | instid1(VALU_DEP_1)
	v_cndmask_b32_e32 v10, v10, v12, vcc_lo
	v_lshlrev_b32_e32 v10, 7, v10
	s_delay_alu instid0(VALU_DEP_1)
	v_or3_b32 v36, v2, v11, v10
.LBB4_92:
	s_or_b32 exec_lo, exec_lo, s5
	v_lshrrev_b32_e32 v2, 24, v3
	s_mov_b32 s4, 0
	s_mov_b32 s14, exec_lo
                                        ; implicit-def: $sgpr5
	s_delay_alu instid0(VALU_DEP_1)
	v_cmpx_lt_i16_e32 0x7f, v2
	s_xor_b32 s14, exec_lo, s14
	s_cbranch_execnz .LBB4_221
; %bb.93:
	s_or_saveexec_b32 s14, s14
	v_mov_b32_e32 v37, s5
	s_xor_b32 exec_lo, exec_lo, s14
	s_cbranch_execnz .LBB4_224
.LBB4_94:
	s_or_b32 exec_lo, exec_lo, s14
	s_and_saveexec_b32 s5, s4
	s_cbranch_execz .LBB4_96
.LBB4_95:
	v_bfe_u32 v10, v3, 24, 3
	v_lshrrev_b32_e32 v13, 27, v3
	v_bfe_u32 v3, v3, 27, 4
	v_and_b32_e32 v9, 0x8000, v9
	s_delay_alu instid0(VALU_DEP_4) | instskip(NEXT) | instid1(VALU_DEP_1)
	v_clz_i32_u32_e32 v11, v10
	v_min_u32_e32 v11, 32, v11
	s_delay_alu instid0(VALU_DEP_1) | instskip(SKIP_1) | instid1(VALU_DEP_2)
	v_subrev_nc_u32_e32 v12, 28, v11
	v_sub_nc_u32_e32 v11, 29, v11
	v_lshlrev_b32_e32 v2, v12, v2
	v_and_b32_e32 v12, 15, v13
	s_delay_alu instid0(VALU_DEP_1) | instskip(NEXT) | instid1(VALU_DEP_3)
	v_cmp_eq_u16_e32 vcc_lo, 0, v12
	v_dual_cndmask_b32 v3, v3, v11 :: v_dual_and_b32 v2, 7, v2
	s_delay_alu instid0(VALU_DEP_1) | instskip(NEXT) | instid1(VALU_DEP_2)
	v_lshl_add_u32 v3, v3, 10, 0x1c00
	v_cndmask_b32_e32 v2, v10, v2, vcc_lo
	s_delay_alu instid0(VALU_DEP_1) | instskip(NEXT) | instid1(VALU_DEP_1)
	v_lshlrev_b32_e32 v2, 7, v2
	v_or3_b32 v37, v9, v3, v2
.LBB4_96:
	s_or_b32 exec_lo, exec_lo, s5
	v_add_nc_u32_e32 v2, s11, v8
	buffer_load_b64 v[2:3], v2, s[0:3], 0 offen
	s_mov_b32 s0, 0
	s_mov_b32 s2, exec_lo
                                        ; implicit-def: $sgpr1
	s_waitcnt vmcnt(0)
	v_and_b32_e32 v8, 0xff, v2
	s_delay_alu instid0(VALU_DEP_1)
	v_cmpx_lt_i16_e32 0x7f, v8
	s_xor_b32 s2, exec_lo, s2
	s_cbranch_execnz .LBB4_225
; %bb.97:
	s_or_saveexec_b32 s2, s2
	v_mov_b32_e32 v38, s1
	s_xor_b32 exec_lo, exec_lo, s2
	s_cbranch_execnz .LBB4_228
.LBB4_98:
	s_or_b32 exec_lo, exec_lo, s2
	s_and_saveexec_b32 s1, s0
	s_cbranch_execz .LBB4_100
.LBB4_99:
	v_lshrrev_b16 v10, 3, v2
	s_delay_alu instid0(VALU_DEP_1) | instskip(NEXT) | instid1(VALU_DEP_1)
	v_and_b32_e32 v10, 15, v10
	v_and_b32_e32 v12, 0xffff, v10
	v_cmp_eq_u16_e32 vcc_lo, 0, v10
	v_and_b32_e32 v8, 7, v2
	v_lshlrev_b32_e32 v10, 8, v2
	s_delay_alu instid0(VALU_DEP_2) | instskip(NEXT) | instid1(VALU_DEP_2)
	v_clz_i32_u32_e32 v9, v8
	v_and_b32_e32 v10, 0x8000, v10
	s_delay_alu instid0(VALU_DEP_2) | instskip(NEXT) | instid1(VALU_DEP_1)
	v_min_u32_e32 v9, 32, v9
	v_subrev_nc_u32_e32 v11, 28, v9
	v_sub_nc_u32_e32 v9, 29, v9
	s_delay_alu instid0(VALU_DEP_2) | instskip(NEXT) | instid1(VALU_DEP_2)
	v_lshlrev_b32_e32 v11, v11, v2
	v_cndmask_b32_e32 v9, v12, v9, vcc_lo
	s_delay_alu instid0(VALU_DEP_2) | instskip(NEXT) | instid1(VALU_DEP_2)
	v_and_b32_e32 v11, 7, v11
	v_lshl_add_u32 v9, v9, 10, 0x1c00
	s_delay_alu instid0(VALU_DEP_2) | instskip(NEXT) | instid1(VALU_DEP_1)
	v_cndmask_b32_e32 v8, v8, v11, vcc_lo
	v_lshlrev_b32_e32 v8, 7, v8
	s_delay_alu instid0(VALU_DEP_1)
	v_or3_b32 v38, v10, v9, v8
.LBB4_100:
	s_or_b32 exec_lo, exec_lo, s1
	v_lshrrev_b32_e32 v8, 8, v2
	s_mov_b32 s0, 0
	s_mov_b32 s2, exec_lo
                                        ; implicit-def: $sgpr1
	s_delay_alu instid0(VALU_DEP_1) | instskip(NEXT) | instid1(VALU_DEP_1)
	v_and_b32_e32 v9, 0xff, v8
	v_cmpx_lt_i16_e32 0x7f, v9
	s_xor_b32 s2, exec_lo, s2
	s_cbranch_execnz .LBB4_229
; %bb.101:
	s_or_saveexec_b32 s2, s2
	v_mov_b32_e32 v39, s1
	s_xor_b32 exec_lo, exec_lo, s2
	s_cbranch_execnz .LBB4_232
.LBB4_102:
	s_or_b32 exec_lo, exec_lo, s2
	s_and_saveexec_b32 s1, s0
	s_cbranch_execz .LBB4_104
.LBB4_103:
	v_bfe_u32 v9, v2, 8, 3
	v_lshrrev_b16 v11, 3, v8
	s_delay_alu instid0(VALU_DEP_2) | instskip(NEXT) | instid1(VALU_DEP_1)
	v_clz_i32_u32_e32 v10, v9
	v_min_u32_e32 v10, 32, v10
	s_delay_alu instid0(VALU_DEP_1) | instskip(SKIP_2) | instid1(VALU_DEP_3)
	v_subrev_nc_u32_e32 v12, 28, v10
	v_sub_nc_u32_e32 v10, 29, v10
	v_and_b32_e32 v11, 15, v11
	v_lshlrev_b32_e32 v12, v12, v8
	s_delay_alu instid0(VALU_DEP_2) | instskip(SKIP_2) | instid1(VALU_DEP_4)
	v_and_b32_e32 v13, 0xffff, v11
	v_cmp_eq_u16_e32 vcc_lo, 0, v11
	v_and_b32_e32 v11, 0x8000, v2
	v_and_b32_e32 v12, 7, v12
	s_delay_alu instid0(VALU_DEP_4) | instskip(NEXT) | instid1(VALU_DEP_2)
	v_cndmask_b32_e32 v10, v13, v10, vcc_lo
	v_cndmask_b32_e32 v9, v9, v12, vcc_lo
	s_delay_alu instid0(VALU_DEP_2) | instskip(NEXT) | instid1(VALU_DEP_2)
	v_lshl_add_u32 v10, v10, 10, 0x1c00
	v_lshlrev_b32_e32 v9, 7, v9
	s_delay_alu instid0(VALU_DEP_1)
	v_or3_b32 v39, v11, v10, v9
.LBB4_104:
	s_or_b32 exec_lo, exec_lo, s1
	v_lshrrev_b32_e32 v9, 16, v2
	s_mov_b32 s0, 0
	s_mov_b32 s2, exec_lo
                                        ; implicit-def: $sgpr1
	s_delay_alu instid0(VALU_DEP_1) | instskip(NEXT) | instid1(VALU_DEP_1)
	v_and_b32_e32 v10, 0xff, v9
	v_cmpx_lt_i16_e32 0x7f, v10
	s_xor_b32 s2, exec_lo, s2
	s_cbranch_execnz .LBB4_233
; %bb.105:
	s_or_saveexec_b32 s2, s2
	v_mov_b32_e32 v40, s1
	s_xor_b32 exec_lo, exec_lo, s2
	s_cbranch_execnz .LBB4_236
.LBB4_106:
	s_or_b32 exec_lo, exec_lo, s2
	s_and_saveexec_b32 s1, s0
	s_cbranch_execz .LBB4_108
.LBB4_107:
	v_bfe_u32 v10, v2, 16, 3
	v_lshrrev_b32_e32 v13, 19, v2
	v_bfe_u32 v14, v2, 19, 4
	v_and_b32_e32 v8, 0x8000, v8
	s_delay_alu instid0(VALU_DEP_4) | instskip(NEXT) | instid1(VALU_DEP_4)
	v_clz_i32_u32_e32 v11, v10
	v_and_b32_e32 v13, 15, v13
	s_delay_alu instid0(VALU_DEP_2) | instskip(NEXT) | instid1(VALU_DEP_2)
	v_min_u32_e32 v11, 32, v11
	v_cmp_eq_u16_e32 vcc_lo, 0, v13
	s_delay_alu instid0(VALU_DEP_2) | instskip(SKIP_1) | instid1(VALU_DEP_1)
	v_subrev_nc_u32_e32 v12, 28, v11
	v_sub_nc_u32_e32 v11, 29, v11
	v_dual_cndmask_b32 v11, v14, v11 :: v_dual_lshlrev_b32 v12, v12, v9
	s_delay_alu instid0(VALU_DEP_1) | instskip(NEXT) | instid1(VALU_DEP_2)
	v_and_b32_e32 v12, 7, v12
	v_lshl_add_u32 v11, v11, 10, 0x1c00
	s_delay_alu instid0(VALU_DEP_2) | instskip(NEXT) | instid1(VALU_DEP_1)
	v_cndmask_b32_e32 v10, v10, v12, vcc_lo
	v_lshlrev_b32_e32 v10, 7, v10
	s_delay_alu instid0(VALU_DEP_1)
	v_or3_b32 v40, v8, v11, v10
.LBB4_108:
	s_or_b32 exec_lo, exec_lo, s1
	v_lshrrev_b32_e32 v8, 24, v2
	s_mov_b32 s0, 0
	s_mov_b32 s2, exec_lo
                                        ; implicit-def: $sgpr1
	s_delay_alu instid0(VALU_DEP_1)
	v_cmpx_lt_i16_e32 0x7f, v8
	s_xor_b32 s2, exec_lo, s2
	s_cbranch_execnz .LBB4_237
; %bb.109:
	s_or_saveexec_b32 s2, s2
	v_mov_b32_e32 v44, s1
	s_xor_b32 exec_lo, exec_lo, s2
	s_cbranch_execnz .LBB4_240
.LBB4_110:
	s_or_b32 exec_lo, exec_lo, s2
	s_and_saveexec_b32 s1, s0
	s_cbranch_execz .LBB4_112
.LBB4_111:
	v_bfe_u32 v10, v2, 24, 3
	v_lshrrev_b32_e32 v13, 27, v2
	v_bfe_u32 v2, v2, 27, 4
	v_and_b32_e32 v9, 0x8000, v9
	s_delay_alu instid0(VALU_DEP_4) | instskip(NEXT) | instid1(VALU_DEP_1)
	v_clz_i32_u32_e32 v11, v10
	v_min_u32_e32 v11, 32, v11
	s_delay_alu instid0(VALU_DEP_1) | instskip(SKIP_1) | instid1(VALU_DEP_2)
	v_subrev_nc_u32_e32 v12, 28, v11
	v_sub_nc_u32_e32 v11, 29, v11
	v_lshlrev_b32_e32 v8, v12, v8
	v_and_b32_e32 v12, 15, v13
	s_delay_alu instid0(VALU_DEP_2) | instskip(NEXT) | instid1(VALU_DEP_2)
	v_and_b32_e32 v8, 7, v8
	v_cmp_eq_u16_e32 vcc_lo, 0, v12
	s_delay_alu instid0(VALU_DEP_2) | instskip(SKIP_1) | instid1(VALU_DEP_2)
	v_cndmask_b32_e32 v8, v10, v8, vcc_lo
	v_cndmask_b32_e32 v2, v2, v11, vcc_lo
	v_lshlrev_b32_e32 v8, 7, v8
	s_delay_alu instid0(VALU_DEP_2) | instskip(NEXT) | instid1(VALU_DEP_1)
	v_lshl_add_u32 v2, v2, 10, 0x1c00
	v_or3_b32 v44, v9, v2, v8
.LBB4_112:
	s_or_b32 exec_lo, exec_lo, s1
	v_and_b32_e32 v8, 0xff, v3
	s_mov_b32 s0, 0
	s_mov_b32 s2, exec_lo
                                        ; implicit-def: $sgpr1
	s_delay_alu instid0(VALU_DEP_1)
	v_cmpx_lt_i16_e32 0x7f, v8
	s_xor_b32 s2, exec_lo, s2
	s_cbranch_execnz .LBB4_241
; %bb.113:
	s_or_saveexec_b32 s2, s2
	v_mov_b32_e32 v2, s1
	s_xor_b32 exec_lo, exec_lo, s2
	s_cbranch_execnz .LBB4_244
.LBB4_114:
	s_or_b32 exec_lo, exec_lo, s2
	s_and_saveexec_b32 s1, s0
	s_cbranch_execz .LBB4_116
.LBB4_115:
	v_and_b32_e32 v2, 7, v3
	v_lshrrev_b16 v9, 3, v3
	s_delay_alu instid0(VALU_DEP_2) | instskip(NEXT) | instid1(VALU_DEP_1)
	v_clz_i32_u32_e32 v8, v2
	v_min_u32_e32 v8, 32, v8
	s_delay_alu instid0(VALU_DEP_1) | instskip(SKIP_1) | instid1(VALU_DEP_2)
	v_subrev_nc_u32_e32 v10, 28, v8
	v_sub_nc_u32_e32 v8, 29, v8
	v_lshlrev_b32_e32 v10, v10, v3
	s_delay_alu instid0(VALU_DEP_1) | instskip(SKIP_1) | instid1(VALU_DEP_1)
	v_and_b32_e32 v10, 7, v10
	v_and_b32_e32 v9, 15, v9
	v_cmp_eq_u16_e32 vcc_lo, 0, v9
	s_delay_alu instid0(VALU_DEP_3) | instskip(SKIP_1) | instid1(VALU_DEP_2)
	v_dual_cndmask_b32 v2, v2, v10 :: v_dual_and_b32 v11, 0xffff, v9
	v_lshlrev_b32_e32 v9, 8, v3
	v_lshlrev_b32_e32 v2, 7, v2
	s_delay_alu instid0(VALU_DEP_2) | instskip(NEXT) | instid1(VALU_DEP_1)
	v_dual_cndmask_b32 v8, v11, v8 :: v_dual_and_b32 v9, 0x8000, v9
	v_lshl_add_u32 v8, v8, 10, 0x1c00
	s_delay_alu instid0(VALU_DEP_1)
	v_or3_b32 v2, v9, v8, v2
.LBB4_116:
	s_or_b32 exec_lo, exec_lo, s1
	v_lshrrev_b32_e32 v8, 8, v3
	s_mov_b32 s0, 0
	s_mov_b32 s2, exec_lo
                                        ; implicit-def: $sgpr1
	s_delay_alu instid0(VALU_DEP_1) | instskip(NEXT) | instid1(VALU_DEP_1)
	v_and_b32_e32 v9, 0xff, v8
	v_cmpx_lt_i16_e32 0x7f, v9
	s_xor_b32 s2, exec_lo, s2
	s_cbranch_execnz .LBB4_245
; %bb.117:
	s_or_saveexec_b32 s2, s2
	v_mov_b32_e32 v45, s1
	s_xor_b32 exec_lo, exec_lo, s2
	s_cbranch_execnz .LBB4_248
.LBB4_118:
	s_or_b32 exec_lo, exec_lo, s2
	s_and_saveexec_b32 s1, s0
	s_cbranch_execz .LBB4_120
.LBB4_119:
	v_bfe_u32 v9, v3, 8, 3
	v_lshrrev_b16 v11, 3, v8
	s_delay_alu instid0(VALU_DEP_2) | instskip(NEXT) | instid1(VALU_DEP_1)
	v_clz_i32_u32_e32 v10, v9
	v_min_u32_e32 v10, 32, v10
	s_delay_alu instid0(VALU_DEP_1) | instskip(SKIP_2) | instid1(VALU_DEP_3)
	v_subrev_nc_u32_e32 v12, 28, v10
	v_sub_nc_u32_e32 v10, 29, v10
	v_and_b32_e32 v11, 15, v11
	v_lshlrev_b32_e32 v12, v12, v8
	s_delay_alu instid0(VALU_DEP_2) | instskip(SKIP_2) | instid1(VALU_DEP_4)
	v_and_b32_e32 v13, 0xffff, v11
	v_cmp_eq_u16_e32 vcc_lo, 0, v11
	v_and_b32_e32 v11, 0x8000, v3
	v_and_b32_e32 v12, 7, v12
	s_delay_alu instid0(VALU_DEP_4) | instskip(NEXT) | instid1(VALU_DEP_2)
	v_cndmask_b32_e32 v10, v13, v10, vcc_lo
	v_cndmask_b32_e32 v9, v9, v12, vcc_lo
	s_delay_alu instid0(VALU_DEP_2) | instskip(NEXT) | instid1(VALU_DEP_2)
	v_lshl_add_u32 v10, v10, 10, 0x1c00
	v_lshlrev_b32_e32 v9, 7, v9
	s_delay_alu instid0(VALU_DEP_1)
	v_or3_b32 v45, v11, v10, v9
.LBB4_120:
	s_or_b32 exec_lo, exec_lo, s1
	v_lshrrev_b32_e32 v9, 16, v3
	s_mov_b32 s0, 0
	s_mov_b32 s2, exec_lo
                                        ; implicit-def: $sgpr1
	s_delay_alu instid0(VALU_DEP_1) | instskip(NEXT) | instid1(VALU_DEP_1)
	v_and_b32_e32 v10, 0xff, v9
	v_cmpx_lt_i16_e32 0x7f, v10
	s_xor_b32 s2, exec_lo, s2
	s_cbranch_execnz .LBB4_249
; %bb.121:
	s_or_saveexec_b32 s2, s2
	v_mov_b32_e32 v46, s1
	s_xor_b32 exec_lo, exec_lo, s2
	s_cbranch_execnz .LBB4_252
.LBB4_122:
	s_or_b32 exec_lo, exec_lo, s2
	s_and_saveexec_b32 s1, s0
	s_cbranch_execz .LBB4_124
.LBB4_123:
	v_bfe_u32 v10, v3, 16, 3
	v_lshrrev_b32_e32 v13, 19, v3
	v_bfe_u32 v14, v3, 19, 4
	v_and_b32_e32 v8, 0x8000, v8
	s_delay_alu instid0(VALU_DEP_4) | instskip(NEXT) | instid1(VALU_DEP_4)
	v_clz_i32_u32_e32 v11, v10
	v_and_b32_e32 v13, 15, v13
	s_delay_alu instid0(VALU_DEP_2) | instskip(NEXT) | instid1(VALU_DEP_2)
	v_min_u32_e32 v11, 32, v11
	v_cmp_eq_u16_e32 vcc_lo, 0, v13
	s_delay_alu instid0(VALU_DEP_2) | instskip(SKIP_1) | instid1(VALU_DEP_1)
	v_subrev_nc_u32_e32 v12, 28, v11
	v_sub_nc_u32_e32 v11, 29, v11
	v_dual_cndmask_b32 v11, v14, v11 :: v_dual_lshlrev_b32 v12, v12, v9
	s_delay_alu instid0(VALU_DEP_1) | instskip(NEXT) | instid1(VALU_DEP_2)
	v_and_b32_e32 v12, 7, v12
	v_lshl_add_u32 v11, v11, 10, 0x1c00
	s_delay_alu instid0(VALU_DEP_2) | instskip(NEXT) | instid1(VALU_DEP_1)
	v_cndmask_b32_e32 v10, v10, v12, vcc_lo
	v_lshlrev_b32_e32 v10, 7, v10
	s_delay_alu instid0(VALU_DEP_1)
	v_or3_b32 v46, v8, v11, v10
.LBB4_124:
	s_or_b32 exec_lo, exec_lo, s1
	v_lshrrev_b32_e32 v8, 24, v3
	s_mov_b32 s0, 0
	s_mov_b32 s2, exec_lo
                                        ; implicit-def: $sgpr1
	s_delay_alu instid0(VALU_DEP_1)
	v_cmpx_lt_i16_e32 0x7f, v8
	s_xor_b32 s2, exec_lo, s2
	s_cbranch_execnz .LBB4_253
; %bb.125:
	s_or_saveexec_b32 s2, s2
	v_mov_b32_e32 v47, s1
	s_xor_b32 exec_lo, exec_lo, s2
	s_cbranch_execnz .LBB4_256
.LBB4_126:
	s_or_b32 exec_lo, exec_lo, s2
	s_and_saveexec_b32 s1, s0
	s_cbranch_execz .LBB4_128
.LBB4_127:
	v_bfe_u32 v10, v3, 24, 3
	v_lshrrev_b32_e32 v13, 27, v3
	v_bfe_u32 v3, v3, 27, 4
	v_and_b32_e32 v9, 0x8000, v9
	s_delay_alu instid0(VALU_DEP_4) | instskip(NEXT) | instid1(VALU_DEP_1)
	v_clz_i32_u32_e32 v11, v10
	v_min_u32_e32 v11, 32, v11
	s_delay_alu instid0(VALU_DEP_1) | instskip(SKIP_1) | instid1(VALU_DEP_2)
	v_subrev_nc_u32_e32 v12, 28, v11
	v_sub_nc_u32_e32 v11, 29, v11
	v_lshlrev_b32_e32 v8, v12, v8
	v_and_b32_e32 v12, 15, v13
	s_delay_alu instid0(VALU_DEP_1) | instskip(NEXT) | instid1(VALU_DEP_3)
	v_cmp_eq_u16_e32 vcc_lo, 0, v12
	v_dual_cndmask_b32 v3, v3, v11 :: v_dual_and_b32 v8, 7, v8
	s_delay_alu instid0(VALU_DEP_1) | instskip(NEXT) | instid1(VALU_DEP_2)
	v_lshl_add_u32 v3, v3, 10, 0x1c00
	v_cndmask_b32_e32 v8, v10, v8, vcc_lo
	s_delay_alu instid0(VALU_DEP_1) | instskip(NEXT) | instid1(VALU_DEP_1)
	v_lshlrev_b32_e32 v8, 7, v8
	v_or3_b32 v47, v9, v3, v8
.LBB4_128:
	s_or_b32 exec_lo, exec_lo, s1
	s_mul_i32 s13, s13, s17
	s_mul_hi_u32 s11, s12, s17
	v_lshrrev_b32_e32 v41, 1, v0
	s_add_i32 s11, s11, s13
	s_add_u32 s0, 0, 0
	s_addc_u32 s0, s9, 0x7fffffff
	s_mov_b32 s12, s6
	s_mul_i32 s0, s0, s16
	s_mov_b32 s13, s7
	s_add_i32 s0, s10, s0
	s_mov_b32 s15, 0x31004000
	s_lshl_b32 s14, s0, 1
	s_mov_b32 s0, 0
	v_bfe_u32 v50, v0, 1, 3
	s_mov_b32 s1, s0
	s_mov_b32 s2, s0
	;; [unrolled: 1-line block ×7, first 2 shown]
	v_and_b32_e32 v43, 0x7e, v41
	v_and_b32_e32 v48, 0x80, v0
	v_lshlrev_b32_e32 v49, 3, v0
	v_perm_b32 v20, v20, v19, 0x5040100
	v_perm_b32 v19, v18, v17, 0x5040100
	v_add_nc_u32_e32 v3, s20, v43
	v_perm_b32 v27, v27, v26, 0x5040100
	v_perm_b32 v26, v25, v24, 0x5040100
	;; [unrolled: 1-line block ×3, first 2 shown]
	v_lshlrev_b32_e32 v17, 4, v5
	v_mad_u64_u32 v[8:9], null, v3, s16, v[1:2]
	v_lshlrev_b32_e32 v23, 5, v0
	v_and_b32_e32 v42, 15, v0
	v_perm_b32 v18, v7, v6, 0x5040100
	v_perm_b32 v35, v35, v34, 0x5040100
	;; [unrolled: 1-line block ×4, first 2 shown]
	v_lshlrev_b32_e32 v1, 1, v8
	v_add_lshl_u32 v3, v8, s16, 1
	s_clause 0x1
	buffer_load_b128 v[8:11], v1, s[12:15], 0 offen
	buffer_load_b128 v[12:15], v3, s[12:15], 0 offen
	v_perm_b32 v31, v45, v2, 0x5040100
	v_lshrrev_b32_e32 v24, 3, v0
	v_mov_b32_e32 v0, s0
	v_mov_b32_e32 v4, s4
	v_perm_b32 v21, v22, v21, 0x5040100
	v_perm_b32 v28, v29, v28, 0x5040100
	;; [unrolled: 1-line block ×5, first 2 shown]
	v_mul_u32_u24_e32 v22, 0x810, v16
	v_dual_mov_b32 v3, s3 :: v_dual_mov_b32 v6, s6
	v_dual_mov_b32 v5, s5 :: v_dual_and_b32 v38, 0x300, v49
	v_dual_mov_b32 v7, s7 :: v_dual_and_b32 v40, 56, v49
	v_and_or_b32 v37, v49, 8, v50
	v_mad_u32_u24 v16, 0x1010, v16, v17
	v_lshlrev_b32_e32 v17, 1, v48
	v_and_b32_e32 v23, 0x200, v23
	v_perm_b32 v32, v47, v46, 0x5040100
	v_dual_mov_b32 v1, s1 :: v_dual_mov_b32 v2, s2
	v_and_b32_e32 v39, 0x400, v49
	v_lshl_or_b32 v44, s8, 8, v24
	ds_store_b128 v16, v[18:21]
	ds_store_b128 v16, v[25:28] offset:16
	ds_store_b128 v16, v[33:36] offset:32
	;; [unrolled: 1-line block ×3, first 2 shown]
	v_and_or_b32 v18, v41, 48, v23
	v_lshl_add_u32 v19, v43, 4, v22
	v_lshl_or_b32 v20, v37, 4, v17
	v_or_b32_e32 v16, s20, v40
	v_lshlrev_b32_e32 v17, 1, v40
	v_lshl_or_b32 v21, v42, 4, v38
	v_or3_b32 v18, v18, v39, v42
	s_add_i32 s0, s9, s11
	s_mov_b32 s12, s18
	v_mad_u64_u32 v[182:183], null, v44, s17, v[16:17]
	v_lshl_or_b32 v48, v24, 7, v17
	v_lshlrev_b32_e32 v49, 1, v18
	s_lshl_b32 s14, s0, 1
	s_mov_b32 s13, s19
	s_lshl_b32 s0, s17, 5
	s_waitcnt vmcnt(1)
	ds_store_b128 v19, v[8:11] offset:16432
	s_waitcnt vmcnt(0)
	ds_store_b128 v19, v[12:15] offset:16448
	s_waitcnt lgkmcnt(0)
	s_barrier
	ds_load_b128 v[32:35], v21 offset:16432
	ds_load_b128 v[24:27], v21 offset:17456
	;; [unrolled: 1-line block ×6, first 2 shown]
	ds_load_b128 v[50:53], v20
	ds_load_b128 v[58:61], v20 offset:512
	ds_load_b128 v[54:57], v20 offset:4112
	ds_load_b128 v[62:65], v20 offset:4624
	ds_load_b128 v[12:15], v21 offset:22624
	ds_load_b128 v[44:47], v21 offset:23648
	ds_load_b128 v[66:69], v20 offset:8224
	ds_load_b128 v[74:77], v20 offset:8736
	ds_load_b128 v[70:73], v20 offset:12336
	ds_load_b128 v[78:81], v20 offset:12848
	ds_load_b128 v[82:85], v20 offset:1024
	ds_load_b128 v[90:93], v20 offset:1536
	ds_load_b128 v[86:89], v20 offset:5136
	ds_load_b128 v[94:97], v20 offset:5648
	ds_load_b128 v[98:101], v20 offset:9248
	ds_load_b128 v[106:109], v20 offset:9760
	ds_load_b128 v[102:105], v20 offset:13360
	ds_load_b128 v[110:113], v20 offset:13872
	ds_load_b128 v[114:117], v20 offset:2048
	ds_load_b128 v[122:125], v20 offset:2560
	ds_load_b128 v[118:121], v20 offset:6160
	ds_load_b128 v[126:129], v20 offset:6672
	ds_load_b128 v[130:133], v20 offset:10272
	ds_load_b128 v[138:141], v20 offset:10784
	ds_load_b128 v[134:137], v20 offset:14384
	ds_load_b128 v[142:145], v20 offset:14896
	ds_load_b128 v[146:149], v20 offset:3072
	ds_load_b128 v[154:157], v20 offset:3584
	s_waitcnt lgkmcnt(25)
	v_wmma_f32_16x16x16_f16 v[162:169], v[50:57], v[32:39], v[0:7]
	ds_load_b128 v[150:153], v20 offset:7184
	ds_load_b128 v[158:161], v20 offset:7696
	ds_load_b128 v[170:173], v20 offset:11296
	ds_load_b128 v[16:19], v20 offset:11808
	ds_load_b128 v[174:177], v20 offset:15408
	ds_load_b128 v[20:23], v20 offset:15920
	s_waitcnt lgkmcnt(0)
	v_wmma_f32_16x16x16_f16 v[162:169], v[66:73], v[8:15], v[162:169]
	s_barrier
	s_delay_alu instid0(VALU_DEP_1) | instskip(NEXT) | instid1(VALU_DEP_2)
	v_cvt_f16_f32_e64 v162, v162
	v_cvt_f16_f32_e64 v163, v163
	s_delay_alu instid0(VALU_DEP_3)
	v_cvt_f16_f32_e64 v164, v164
	v_cvt_f16_f32_e64 v165, v165
	;; [unrolled: 1-line block ×6, first 2 shown]
	ds_store_b16 v49, v162
	ds_store_b16 v49, v163 offset:128
	ds_store_b16 v49, v164 offset:256
	ds_store_b16 v49, v165 offset:384
	ds_store_b16 v49, v166 offset:512
	ds_store_b16 v49, v167 offset:640
	ds_store_b16 v49, v168 offset:768
	ds_store_b16 v49, v169 offset:896
	s_waitcnt lgkmcnt(0)
	s_barrier
	ds_load_2addr_b64 v[178:181], v48 offset1:1
	v_wmma_f32_16x16x16_f16 v[162:169], v[50:57], v[24:31], v[0:7]
	s_delay_alu instid0(VALU_DEP_1) | instskip(SKIP_2) | instid1(VALU_DEP_3)
	v_wmma_f32_16x16x16_f16 v[162:169], v[66:73], v[40:47], v[162:169]
	v_lshlrev_b32_e32 v70, 1, v182
	v_add_nc_u32_e32 v71, 64, v182
	v_cvt_f16_f32_e64 v50, v162
	s_delay_alu instid0(VALU_DEP_4)
	v_cvt_f16_f32_e64 v51, v163
	v_cvt_f16_f32_e64 v52, v164
	;; [unrolled: 1-line block ×7, first 2 shown]
	v_lshlrev_b32_e32 v72, 1, v71
	s_waitcnt lgkmcnt(0)
	buffer_store_b128 v[178:181], v70, s[12:15], 0 offen
	s_waitcnt lgkmcnt(0)
	s_waitcnt_vscnt null, 0x0
	s_barrier
	ds_store_b16 v49, v50
	ds_store_b16 v49, v51 offset:128
	ds_store_b16 v49, v52 offset:256
	ds_store_b16 v49, v53 offset:384
	ds_store_b16 v49, v54 offset:512
	ds_store_b16 v49, v55 offset:640
	ds_store_b16 v49, v56 offset:768
	ds_store_b16 v49, v57 offset:896
	s_waitcnt lgkmcnt(0)
	s_barrier
	ds_load_2addr_b64 v[66:69], v48 offset1:1
	v_wmma_f32_16x16x16_f16 v[50:57], v[58:65], v[24:31], v[0:7]
	s_waitcnt lgkmcnt(0)
	s_clause 0x1
	buffer_store_b64 v[66:67], v72, s[12:15], 0 offen
	buffer_store_b64 v[68:69], v70, s[12:15], 0 offen offset:136
	v_wmma_f32_16x16x16_f16 v[50:57], v[74:81], v[40:47], v[50:57]
	s_waitcnt lgkmcnt(0)
	s_waitcnt_vscnt null, 0x0
	s_barrier
	s_delay_alu instid0(VALU_DEP_1)
	v_cvt_f16_f32_e32 v50, v50
	v_cvt_f16_f32_e32 v51, v51
	;; [unrolled: 1-line block ×8, first 2 shown]
	ds_store_b16 v49, v50
	ds_store_b16 v49, v51 offset:128
	ds_store_b16 v49, v52 offset:256
	;; [unrolled: 1-line block ×7, first 2 shown]
	s_waitcnt lgkmcnt(0)
	s_barrier
	ds_load_2addr_b64 v[66:69], v48 offset1:1
	v_wmma_f32_16x16x16_f16 v[50:57], v[58:65], v[32:39], v[0:7]
	v_add_lshl_u32 v58, v71, s0, 1
	v_add_nc_u32_e32 v62, s0, v182
	s_delay_alu instid0(VALU_DEP_3) | instskip(NEXT) | instid1(VALU_DEP_2)
	v_wmma_f32_16x16x16_f16 v[50:57], v[74:81], v[8:15], v[50:57]
	v_lshlrev_b32_e32 v63, 1, v62
	v_add_nc_u32_e32 v62, s0, v62
	s_delay_alu instid0(VALU_DEP_3) | instskip(NEXT) | instid1(VALU_DEP_4)
	v_cvt_f16_f32_e32 v50, v50
	v_cvt_f16_f32_e32 v51, v51
	;; [unrolled: 1-line block ×8, first 2 shown]
	v_add_nc_u32_e32 v64, 64, v62
	s_waitcnt lgkmcnt(0)
	buffer_store_b128 v[66:69], v58, s[12:15], 0 offen
	s_waitcnt lgkmcnt(0)
	s_waitcnt_vscnt null, 0x0
	s_barrier
	ds_store_b16 v49, v50
	ds_store_b16 v49, v51 offset:128
	ds_store_b16 v49, v52 offset:256
	;; [unrolled: 1-line block ×7, first 2 shown]
	s_waitcnt lgkmcnt(0)
	s_barrier
	ds_load_2addr_b64 v[58:61], v48 offset1:1
	v_wmma_f32_16x16x16_f16 v[50:57], v[82:89], v[32:39], v[0:7]
	v_lshlrev_b32_e32 v65, 1, v64
	s_delay_alu instid0(VALU_DEP_2) | instskip(NEXT) | instid1(VALU_DEP_1)
	v_wmma_f32_16x16x16_f16 v[50:57], v[98:105], v[8:15], v[50:57]
	v_cvt_f16_f32_e32 v50, v50
	s_delay_alu instid0(VALU_DEP_2) | instskip(NEXT) | instid1(VALU_DEP_3)
	v_cvt_f16_f32_e32 v51, v51
	v_cvt_f16_f32_e32 v52, v52
	s_delay_alu instid0(VALU_DEP_4)
	v_cvt_f16_f32_e32 v53, v53
	v_cvt_f16_f32_e32 v54, v54
	;; [unrolled: 1-line block ×5, first 2 shown]
	s_waitcnt lgkmcnt(0)
	buffer_store_b128 v[58:61], v63, s[12:15], 0 offen
	s_waitcnt lgkmcnt(0)
	s_waitcnt_vscnt null, 0x0
	s_barrier
	ds_store_b16 v49, v50
	ds_store_b16 v49, v51 offset:128
	ds_store_b16 v49, v52 offset:256
	;; [unrolled: 1-line block ×7, first 2 shown]
	s_waitcnt lgkmcnt(0)
	s_barrier
	ds_load_2addr_b64 v[58:61], v48 offset1:1
	v_wmma_f32_16x16x16_f16 v[50:57], v[82:89], v[24:31], v[0:7]
	v_lshlrev_b32_e32 v63, 1, v62
	v_add_nc_u32_e32 v62, s0, v62
	s_delay_alu instid0(VALU_DEP_3) | instskip(NEXT) | instid1(VALU_DEP_1)
	v_wmma_f32_16x16x16_f16 v[50:57], v[98:105], v[40:47], v[50:57]
	v_cvt_f16_f32_e32 v50, v50
	s_delay_alu instid0(VALU_DEP_2) | instskip(NEXT) | instid1(VALU_DEP_3)
	v_cvt_f16_f32_e32 v51, v51
	v_cvt_f16_f32_e32 v52, v52
	s_delay_alu instid0(VALU_DEP_4)
	v_cvt_f16_f32_e32 v53, v53
	v_cvt_f16_f32_e32 v54, v54
	;; [unrolled: 1-line block ×5, first 2 shown]
	s_waitcnt lgkmcnt(0)
	buffer_store_b128 v[58:61], v63, s[12:15], 0 offen
	s_waitcnt lgkmcnt(0)
	s_waitcnt_vscnt null, 0x0
	s_barrier
	ds_store_b16 v49, v50
	ds_store_b16 v49, v51 offset:128
	ds_store_b16 v49, v52 offset:256
	;; [unrolled: 1-line block ×7, first 2 shown]
	s_waitcnt lgkmcnt(0)
	s_barrier
	ds_load_2addr_b64 v[58:61], v48 offset1:1
	v_wmma_f32_16x16x16_f16 v[50:57], v[90:97], v[24:31], v[0:7]
	s_waitcnt lgkmcnt(0)
	s_clause 0x1
	buffer_store_b64 v[58:59], v65, s[12:15], 0 offen
	buffer_store_b64 v[60:61], v63, s[12:15], 0 offen offset:136
	v_wmma_f32_16x16x16_f16 v[50:57], v[106:113], v[40:47], v[50:57]
	s_waitcnt lgkmcnt(0)
	s_waitcnt_vscnt null, 0x0
	s_barrier
	v_add_lshl_u32 v63, v64, s0, 1
	v_cvt_f16_f32_e32 v50, v50
	v_cvt_f16_f32_e32 v51, v51
	;; [unrolled: 1-line block ×8, first 2 shown]
	ds_store_b16 v49, v50
	ds_store_b16 v49, v51 offset:128
	ds_store_b16 v49, v52 offset:256
	;; [unrolled: 1-line block ×7, first 2 shown]
	s_waitcnt lgkmcnt(0)
	s_barrier
	ds_load_2addr_b64 v[58:61], v48 offset1:1
	v_wmma_f32_16x16x16_f16 v[50:57], v[90:97], v[32:39], v[0:7]
	s_delay_alu instid0(VALU_DEP_1) | instskip(NEXT) | instid1(VALU_DEP_1)
	v_wmma_f32_16x16x16_f16 v[50:57], v[106:113], v[8:15], v[50:57]
	v_cvt_f16_f32_e32 v50, v50
	s_delay_alu instid0(VALU_DEP_2) | instskip(NEXT) | instid1(VALU_DEP_3)
	v_cvt_f16_f32_e32 v51, v51
	v_cvt_f16_f32_e32 v52, v52
	s_delay_alu instid0(VALU_DEP_4)
	v_cvt_f16_f32_e32 v53, v53
	v_cvt_f16_f32_e32 v54, v54
	v_cvt_f16_f32_e32 v55, v55
	v_cvt_f16_f32_e32 v56, v56
	v_cvt_f16_f32_e32 v57, v57
	s_waitcnt lgkmcnt(0)
	buffer_store_b128 v[58:61], v63, s[12:15], 0 offen
	s_waitcnt lgkmcnt(0)
	s_waitcnt_vscnt null, 0x0
	s_barrier
	ds_store_b16 v49, v50
	ds_store_b16 v49, v51 offset:128
	ds_store_b16 v49, v52 offset:256
	;; [unrolled: 1-line block ×7, first 2 shown]
	s_waitcnt lgkmcnt(0)
	s_barrier
	ds_load_2addr_b64 v[58:61], v48 offset1:1
	v_wmma_f32_16x16x16_f16 v[50:57], v[114:121], v[32:39], v[0:7]
	v_lshlrev_b32_e32 v63, 1, v62
	v_add_nc_u32_e32 v62, s0, v62
	s_delay_alu instid0(VALU_DEP_3) | instskip(NEXT) | instid1(VALU_DEP_2)
	v_wmma_f32_16x16x16_f16 v[50:57], v[130:137], v[8:15], v[50:57]
	v_add_nc_u32_e32 v64, 64, v62
	s_delay_alu instid0(VALU_DEP_2) | instskip(NEXT) | instid1(VALU_DEP_3)
	v_cvt_f16_f32_e32 v50, v50
	v_cvt_f16_f32_e32 v51, v51
	s_delay_alu instid0(VALU_DEP_4)
	v_cvt_f16_f32_e32 v52, v52
	v_cvt_f16_f32_e32 v53, v53
	;; [unrolled: 1-line block ×6, first 2 shown]
	v_lshlrev_b32_e32 v65, 1, v64
	s_waitcnt lgkmcnt(0)
	buffer_store_b128 v[58:61], v63, s[12:15], 0 offen
	s_waitcnt lgkmcnt(0)
	s_waitcnt_vscnt null, 0x0
	s_barrier
	ds_store_b16 v49, v50
	ds_store_b16 v49, v51 offset:128
	ds_store_b16 v49, v52 offset:256
	ds_store_b16 v49, v53 offset:384
	ds_store_b16 v49, v54 offset:512
	ds_store_b16 v49, v55 offset:640
	ds_store_b16 v49, v56 offset:768
	ds_store_b16 v49, v57 offset:896
	s_waitcnt lgkmcnt(0)
	s_barrier
	ds_load_2addr_b64 v[58:61], v48 offset1:1
	v_wmma_f32_16x16x16_f16 v[50:57], v[114:121], v[24:31], v[0:7]
	v_lshlrev_b32_e32 v63, 1, v62
	v_add_nc_u32_e32 v62, s0, v62
	s_delay_alu instid0(VALU_DEP_3) | instskip(NEXT) | instid1(VALU_DEP_1)
	v_wmma_f32_16x16x16_f16 v[50:57], v[130:137], v[40:47], v[50:57]
	v_cvt_f16_f32_e32 v50, v50
	s_delay_alu instid0(VALU_DEP_2) | instskip(NEXT) | instid1(VALU_DEP_3)
	v_cvt_f16_f32_e32 v51, v51
	v_cvt_f16_f32_e32 v52, v52
	s_delay_alu instid0(VALU_DEP_4)
	v_cvt_f16_f32_e32 v53, v53
	v_cvt_f16_f32_e32 v54, v54
	;; [unrolled: 1-line block ×5, first 2 shown]
	s_waitcnt lgkmcnt(0)
	buffer_store_b128 v[58:61], v63, s[12:15], 0 offen
	s_waitcnt lgkmcnt(0)
	s_waitcnt_vscnt null, 0x0
	s_barrier
	ds_store_b16 v49, v50
	ds_store_b16 v49, v51 offset:128
	ds_store_b16 v49, v52 offset:256
	;; [unrolled: 1-line block ×7, first 2 shown]
	s_waitcnt lgkmcnt(0)
	s_barrier
	ds_load_2addr_b64 v[58:61], v48 offset1:1
	v_wmma_f32_16x16x16_f16 v[50:57], v[122:129], v[24:31], v[0:7]
	s_waitcnt lgkmcnt(0)
	s_clause 0x1
	buffer_store_b64 v[58:59], v65, s[12:15], 0 offen
	buffer_store_b64 v[60:61], v63, s[12:15], 0 offen offset:136
	v_wmma_f32_16x16x16_f16 v[50:57], v[138:145], v[40:47], v[50:57]
	s_waitcnt lgkmcnt(0)
	s_waitcnt_vscnt null, 0x0
	s_barrier
	v_add_lshl_u32 v63, v64, s0, 1
	v_cvt_f16_f32_e32 v50, v50
	v_cvt_f16_f32_e32 v51, v51
	;; [unrolled: 1-line block ×8, first 2 shown]
	ds_store_b16 v49, v50
	ds_store_b16 v49, v51 offset:128
	ds_store_b16 v49, v52 offset:256
	;; [unrolled: 1-line block ×7, first 2 shown]
	s_waitcnt lgkmcnt(0)
	s_barrier
	ds_load_2addr_b64 v[58:61], v48 offset1:1
	v_wmma_f32_16x16x16_f16 v[50:57], v[122:129], v[32:39], v[0:7]
	s_delay_alu instid0(VALU_DEP_1) | instskip(NEXT) | instid1(VALU_DEP_1)
	v_wmma_f32_16x16x16_f16 v[50:57], v[138:145], v[8:15], v[50:57]
	v_cvt_f16_f32_e32 v50, v50
	s_delay_alu instid0(VALU_DEP_2) | instskip(NEXT) | instid1(VALU_DEP_3)
	v_cvt_f16_f32_e32 v51, v51
	v_cvt_f16_f32_e32 v52, v52
	s_delay_alu instid0(VALU_DEP_4)
	v_cvt_f16_f32_e32 v53, v53
	v_cvt_f16_f32_e32 v54, v54
	;; [unrolled: 1-line block ×5, first 2 shown]
	s_waitcnt lgkmcnt(0)
	buffer_store_b128 v[58:61], v63, s[12:15], 0 offen
	s_waitcnt lgkmcnt(0)
	s_waitcnt_vscnt null, 0x0
	s_barrier
	ds_store_b16 v49, v50
	ds_store_b16 v49, v51 offset:128
	ds_store_b16 v49, v52 offset:256
	;; [unrolled: 1-line block ×7, first 2 shown]
	s_waitcnt lgkmcnt(0)
	s_barrier
	ds_load_2addr_b64 v[58:61], v48 offset1:1
	v_wmma_f32_16x16x16_f16 v[50:57], v[146:153], v[32:39], v[0:7]
	v_lshlrev_b32_e32 v63, 1, v62
	v_add_nc_u32_e32 v62, s0, v62
	s_delay_alu instid0(VALU_DEP_3) | instskip(NEXT) | instid1(VALU_DEP_1)
	v_wmma_f32_16x16x16_f16 v[50:57], v[170:177], v[8:15], v[50:57]
	v_cvt_f16_f32_e32 v50, v50
	s_delay_alu instid0(VALU_DEP_2) | instskip(NEXT) | instid1(VALU_DEP_3)
	v_cvt_f16_f32_e32 v51, v51
	v_cvt_f16_f32_e32 v52, v52
	s_delay_alu instid0(VALU_DEP_4)
	v_cvt_f16_f32_e32 v53, v53
	v_cvt_f16_f32_e32 v54, v54
	;; [unrolled: 1-line block ×5, first 2 shown]
	s_waitcnt lgkmcnt(0)
	buffer_store_b128 v[58:61], v63, s[12:15], 0 offen
	s_waitcnt lgkmcnt(0)
	s_waitcnt_vscnt null, 0x0
	s_barrier
	ds_store_b16 v49, v50
	ds_store_b16 v49, v51 offset:128
	ds_store_b16 v49, v52 offset:256
	;; [unrolled: 1-line block ×7, first 2 shown]
	s_waitcnt lgkmcnt(0)
	s_barrier
	ds_load_2addr_b64 v[58:61], v48 offset1:1
	v_wmma_f32_16x16x16_f16 v[50:57], v[146:153], v[24:31], v[0:7]
	v_lshlrev_b32_e32 v63, 1, v62
	s_delay_alu instid0(VALU_DEP_2) | instskip(NEXT) | instid1(VALU_DEP_1)
	v_wmma_f32_16x16x16_f16 v[50:57], v[170:177], v[40:47], v[50:57]
	v_cvt_f16_f32_e32 v50, v50
	s_delay_alu instid0(VALU_DEP_2) | instskip(NEXT) | instid1(VALU_DEP_3)
	v_cvt_f16_f32_e32 v51, v51
	v_cvt_f16_f32_e32 v52, v52
	s_delay_alu instid0(VALU_DEP_4)
	v_cvt_f16_f32_e32 v53, v53
	v_cvt_f16_f32_e32 v54, v54
	;; [unrolled: 1-line block ×5, first 2 shown]
	s_waitcnt lgkmcnt(0)
	buffer_store_b128 v[58:61], v63, s[12:15], 0 offen
	s_waitcnt lgkmcnt(0)
	s_waitcnt_vscnt null, 0x0
	s_barrier
	ds_store_b16 v49, v50
	ds_store_b16 v49, v51 offset:128
	ds_store_b16 v49, v52 offset:256
	;; [unrolled: 1-line block ×7, first 2 shown]
	s_waitcnt lgkmcnt(0)
	s_barrier
	ds_load_2addr_b64 v[58:61], v48 offset1:1
	v_wmma_f32_16x16x16_f16 v[50:57], v[154:161], v[32:39], v[0:7]
	v_wmma_f32_16x16x16_f16 v[0:7], v[154:161], v[24:31], v[0:7]
	v_add_nc_u32_e32 v24, 64, v62
	s_delay_alu instid0(VALU_DEP_3) | instskip(NEXT) | instid1(VALU_DEP_3)
	v_wmma_f32_16x16x16_f16 v[50:57], v[16:23], v[8:15], v[50:57]
	v_wmma_f32_16x16x16_f16 v[0:7], v[16:23], v[40:47], v[0:7]
	s_delay_alu instid0(VALU_DEP_3)
	v_lshlrev_b32_e32 v25, 1, v24
	s_waitcnt lgkmcnt(0)
	s_clause 0x1
	buffer_store_b64 v[58:59], v25, s[12:15], 0 offen
	buffer_store_b64 v[60:61], v63, s[12:15], 0 offen offset:136
	v_cvt_f16_f32_e32 v0, v0
	v_cvt_f16_f32_e32 v1, v1
	;; [unrolled: 1-line block ×8, first 2 shown]
	s_waitcnt lgkmcnt(0)
	s_waitcnt_vscnt null, 0x0
	s_barrier
	ds_store_b16 v49, v0
	ds_store_b16 v49, v1 offset:128
	ds_store_b16 v49, v2 offset:256
	;; [unrolled: 1-line block ×7, first 2 shown]
	s_waitcnt lgkmcnt(0)
	s_barrier
	ds_load_2addr_b64 v[0:3], v48 offset1:1
	v_add_lshl_u32 v4, v24, s0, 1
	v_cvt_f16_f32_e32 v5, v50
	v_cvt_f16_f32_e32 v6, v51
	;; [unrolled: 1-line block ×8, first 2 shown]
	s_waitcnt lgkmcnt(0)
	buffer_store_b128 v[0:3], v4, s[12:15], 0 offen
	s_waitcnt lgkmcnt(0)
	s_waitcnt_vscnt null, 0x0
	s_barrier
	ds_store_b16 v49, v5
	ds_store_b16 v49, v6 offset:128
	ds_store_b16 v49, v7 offset:256
	;; [unrolled: 1-line block ×7, first 2 shown]
	s_waitcnt lgkmcnt(0)
	s_barrier
	ds_load_2addr_b64 v[0:3], v48 offset1:1
	v_add_lshl_u32 v4, v62, s0, 1
	s_waitcnt lgkmcnt(0)
	buffer_store_b128 v[0:3], v4, s[12:15], 0 offen
	s_nop 0
	s_sendmsg sendmsg(MSG_DEALLOC_VGPRS)
	s_endpgm
.LBB4_129:
	s_mov_b32 s4, -1
	s_mov_b32 s15, exec_lo
                                        ; implicit-def: $sgpr5
	v_cmpx_eq_u16_e32 0x80, v7
; %bb.130:
	s_movk_i32 s5, 0x7c01
	s_xor_b32 s4, exec_lo, -1
; %bb.131:
	s_or_b32 exec_lo, exec_lo, s15
	s_delay_alu instid0(SALU_CYCLE_1)
	s_and_b32 s4, s4, exec_lo
                                        ; implicit-def: $vgpr7
	s_or_saveexec_b32 s14, s14
	v_mov_b32_e32 v6, s5
	s_xor_b32 exec_lo, exec_lo, s14
	s_cbranch_execz .LBB4_2
.LBB4_132:
	v_cmp_ne_u16_e32 vcc_lo, 0, v7
	v_mov_b32_e32 v6, v7
	s_and_not1_b32 s4, s4, exec_lo
	s_and_b32 s5, vcc_lo, exec_lo
	s_delay_alu instid0(SALU_CYCLE_1)
	s_or_b32 s4, s4, s5
	s_or_b32 exec_lo, exec_lo, s14
	s_and_saveexec_b32 s5, s4
	s_cbranch_execnz .LBB4_3
	s_branch .LBB4_4
.LBB4_133:
	s_mov_b32 s4, -1
	s_mov_b32 s15, exec_lo
                                        ; implicit-def: $sgpr5
	v_cmpx_eq_u16_e32 0x80, v9
; %bb.134:
	s_movk_i32 s5, 0x7c01
	s_xor_b32 s4, exec_lo, -1
; %bb.135:
	s_or_b32 exec_lo, exec_lo, s15
	s_delay_alu instid0(SALU_CYCLE_1)
	s_and_b32 s4, s4, exec_lo
                                        ; implicit-def: $vgpr9
	s_or_saveexec_b32 s14, s14
	v_mov_b32_e32 v7, s5
	s_xor_b32 exec_lo, exec_lo, s14
	s_cbranch_execz .LBB4_6
.LBB4_136:
	v_cmp_ne_u16_e32 vcc_lo, 0, v9
	v_mov_b32_e32 v7, 0
	s_and_not1_b32 s4, s4, exec_lo
	s_and_b32 s5, vcc_lo, exec_lo
	s_delay_alu instid0(SALU_CYCLE_1)
	s_or_b32 s4, s4, s5
	s_or_b32 exec_lo, exec_lo, s14
	s_and_saveexec_b32 s5, s4
	s_cbranch_execnz .LBB4_7
	s_branch .LBB4_8
.LBB4_137:
	s_mov_b32 s4, -1
	s_mov_b32 s15, exec_lo
                                        ; implicit-def: $sgpr5
	v_cmpx_eq_u16_e32 0x80, v10
; %bb.138:
	s_movk_i32 s5, 0x7c01
	s_xor_b32 s4, exec_lo, -1
; %bb.139:
	s_or_b32 exec_lo, exec_lo, s15
	s_delay_alu instid0(SALU_CYCLE_1)
	s_and_b32 s4, s4, exec_lo
                                        ; implicit-def: $vgpr10
	s_or_saveexec_b32 s14, s14
	v_mov_b32_e32 v17, s5
	s_xor_b32 exec_lo, exec_lo, s14
	s_cbranch_execz .LBB4_10
.LBB4_140:
	v_cmp_ne_u16_e32 vcc_lo, 0, v10
	v_mov_b32_e32 v17, 0
	s_and_not1_b32 s4, s4, exec_lo
	s_and_b32 s5, vcc_lo, exec_lo
	s_delay_alu instid0(SALU_CYCLE_1)
	s_or_b32 s4, s4, s5
	s_or_b32 exec_lo, exec_lo, s14
	s_and_saveexec_b32 s5, s4
	s_cbranch_execnz .LBB4_11
	s_branch .LBB4_12
.LBB4_141:
	s_mov_b32 s4, -1
	s_mov_b32 s15, exec_lo
                                        ; implicit-def: $sgpr5
	v_cmpx_eq_u16_e32 0x80, v8
; %bb.142:
	s_movk_i32 s5, 0x7c01
	s_xor_b32 s4, exec_lo, -1
; %bb.143:
	s_or_b32 exec_lo, exec_lo, s15
	s_delay_alu instid0(SALU_CYCLE_1)
	s_and_b32 s4, s4, exec_lo
	s_or_saveexec_b32 s14, s14
	v_mov_b32_e32 v18, s5
	s_xor_b32 exec_lo, exec_lo, s14
	s_cbranch_execz .LBB4_14
.LBB4_144:
	v_cmp_ne_u16_e32 vcc_lo, 0, v8
	v_mov_b32_e32 v18, 0
	s_and_not1_b32 s4, s4, exec_lo
	s_and_b32 s5, vcc_lo, exec_lo
	s_delay_alu instid0(SALU_CYCLE_1)
	s_or_b32 s4, s4, s5
	s_or_b32 exec_lo, exec_lo, s14
	s_and_saveexec_b32 s5, s4
	s_cbranch_execnz .LBB4_15
	s_branch .LBB4_16
.LBB4_145:
	s_mov_b32 s4, -1
	s_mov_b32 s15, exec_lo
                                        ; implicit-def: $sgpr5
	v_cmpx_eq_u16_e32 0x80, v3
; %bb.146:
	s_movk_i32 s5, 0x7c01
	s_xor_b32 s4, exec_lo, -1
; %bb.147:
	s_or_b32 exec_lo, exec_lo, s15
	s_delay_alu instid0(SALU_CYCLE_1)
	s_and_b32 s4, s4, exec_lo
                                        ; implicit-def: $vgpr3
	s_or_saveexec_b32 s14, s14
	v_mov_b32_e32 v19, s5
	s_xor_b32 exec_lo, exec_lo, s14
	s_cbranch_execz .LBB4_18
.LBB4_148:
	v_cmp_ne_u16_e32 vcc_lo, 0, v3
	v_mov_b32_e32 v19, 0
	s_and_not1_b32 s4, s4, exec_lo
	s_and_b32 s5, vcc_lo, exec_lo
	s_delay_alu instid0(SALU_CYCLE_1)
	s_or_b32 s4, s4, s5
	s_or_b32 exec_lo, exec_lo, s14
	s_and_saveexec_b32 s5, s4
	s_cbranch_execnz .LBB4_19
	s_branch .LBB4_20
.LBB4_149:
	s_mov_b32 s4, -1
	s_mov_b32 s15, exec_lo
                                        ; implicit-def: $sgpr5
	v_cmpx_eq_u16_e32 0x80, v8
; %bb.150:
	s_movk_i32 s5, 0x7c01
	s_xor_b32 s4, exec_lo, -1
; %bb.151:
	s_or_b32 exec_lo, exec_lo, s15
	s_delay_alu instid0(SALU_CYCLE_1)
	s_and_b32 s4, s4, exec_lo
                                        ; implicit-def: $vgpr8
	s_or_saveexec_b32 s14, s14
	v_mov_b32_e32 v20, s5
	s_xor_b32 exec_lo, exec_lo, s14
	s_cbranch_execz .LBB4_22
.LBB4_152:
	v_cmp_ne_u16_e32 vcc_lo, 0, v8
	v_mov_b32_e32 v20, 0
	s_and_not1_b32 s4, s4, exec_lo
	s_and_b32 s5, vcc_lo, exec_lo
	s_delay_alu instid0(SALU_CYCLE_1)
	s_or_b32 s4, s4, s5
	s_or_b32 exec_lo, exec_lo, s14
	s_and_saveexec_b32 s5, s4
	s_cbranch_execnz .LBB4_23
	s_branch .LBB4_24
.LBB4_153:
	s_mov_b32 s4, -1
	s_mov_b32 s15, exec_lo
                                        ; implicit-def: $sgpr5
	v_cmpx_eq_u16_e32 0x80, v9
; %bb.154:
	s_movk_i32 s5, 0x7c01
	s_xor_b32 s4, exec_lo, -1
; %bb.155:
	s_or_b32 exec_lo, exec_lo, s15
	s_delay_alu instid0(SALU_CYCLE_1)
	s_and_b32 s4, s4, exec_lo
                                        ; implicit-def: $vgpr9
	s_or_saveexec_b32 s14, s14
	v_mov_b32_e32 v21, s5
	s_xor_b32 exec_lo, exec_lo, s14
	s_cbranch_execz .LBB4_26
.LBB4_156:
	v_cmp_ne_u16_e32 vcc_lo, 0, v9
	v_mov_b32_e32 v21, 0
	s_and_not1_b32 s4, s4, exec_lo
	s_and_b32 s5, vcc_lo, exec_lo
	s_delay_alu instid0(SALU_CYCLE_1)
	s_or_b32 s4, s4, s5
	s_or_b32 exec_lo, exec_lo, s14
	s_and_saveexec_b32 s5, s4
	s_cbranch_execnz .LBB4_27
	s_branch .LBB4_28
.LBB4_157:
	s_mov_b32 s4, -1
	s_mov_b32 s15, exec_lo
                                        ; implicit-def: $sgpr5
	v_cmpx_eq_u16_e32 0x80, v3
; %bb.158:
	s_movk_i32 s5, 0x7c01
	s_xor_b32 s4, exec_lo, -1
; %bb.159:
	s_or_b32 exec_lo, exec_lo, s15
	s_delay_alu instid0(SALU_CYCLE_1)
	s_and_b32 s4, s4, exec_lo
	s_or_saveexec_b32 s14, s14
	v_mov_b32_e32 v22, s5
	s_xor_b32 exec_lo, exec_lo, s14
	s_cbranch_execz .LBB4_30
.LBB4_160:
	v_cmp_ne_u16_e32 vcc_lo, 0, v3
	v_mov_b32_e32 v22, 0
	s_and_not1_b32 s4, s4, exec_lo
	s_and_b32 s5, vcc_lo, exec_lo
	s_delay_alu instid0(SALU_CYCLE_1)
	s_or_b32 s4, s4, s5
	s_or_b32 exec_lo, exec_lo, s14
	s_and_saveexec_b32 s5, s4
	s_cbranch_execnz .LBB4_31
	s_branch .LBB4_32
.LBB4_161:
	s_mov_b32 s4, -1
	s_mov_b32 s15, exec_lo
                                        ; implicit-def: $sgpr5
	v_cmpx_eq_u16_e32 0x80, v9
; %bb.162:
	s_movk_i32 s5, 0x7c01
	s_xor_b32 s4, exec_lo, -1
; %bb.163:
	s_or_b32 exec_lo, exec_lo, s15
	s_delay_alu instid0(SALU_CYCLE_1)
	s_and_b32 s4, s4, exec_lo
                                        ; implicit-def: $vgpr9
	s_or_saveexec_b32 s14, s14
	v_mov_b32_e32 v4, s5
	s_xor_b32 exec_lo, exec_lo, s14
	s_cbranch_execz .LBB4_34
.LBB4_164:
	v_cmp_ne_u16_e32 vcc_lo, 0, v9
	v_mov_b32_e32 v4, v9
	s_and_not1_b32 s4, s4, exec_lo
	s_and_b32 s5, vcc_lo, exec_lo
	s_delay_alu instid0(SALU_CYCLE_1)
	s_or_b32 s4, s4, s5
	s_or_b32 exec_lo, exec_lo, s14
	s_and_saveexec_b32 s5, s4
	s_cbranch_execnz .LBB4_35
	s_branch .LBB4_36
.LBB4_165:
	s_mov_b32 s4, -1
	s_mov_b32 s15, exec_lo
                                        ; implicit-def: $sgpr5
	v_cmpx_eq_u16_e32 0x80, v10
; %bb.166:
	s_movk_i32 s5, 0x7c01
	s_xor_b32 s4, exec_lo, -1
; %bb.167:
	s_or_b32 exec_lo, exec_lo, s15
	s_delay_alu instid0(SALU_CYCLE_1)
	s_and_b32 s4, s4, exec_lo
                                        ; implicit-def: $vgpr10
	s_or_saveexec_b32 s14, s14
	v_mov_b32_e32 v23, s5
	s_xor_b32 exec_lo, exec_lo, s14
	s_cbranch_execz .LBB4_38
.LBB4_168:
	v_cmp_ne_u16_e32 vcc_lo, 0, v10
	v_mov_b32_e32 v23, 0
	s_and_not1_b32 s4, s4, exec_lo
	s_and_b32 s5, vcc_lo, exec_lo
	s_delay_alu instid0(SALU_CYCLE_1)
	s_or_b32 s4, s4, s5
	s_or_b32 exec_lo, exec_lo, s14
	s_and_saveexec_b32 s5, s4
	s_cbranch_execnz .LBB4_39
	s_branch .LBB4_40
.LBB4_169:
	s_mov_b32 s4, -1
	s_mov_b32 s15, exec_lo
                                        ; implicit-def: $sgpr5
	v_cmpx_eq_u16_e32 0x80, v11
; %bb.170:
	s_movk_i32 s5, 0x7c01
	s_xor_b32 s4, exec_lo, -1
; %bb.171:
	s_or_b32 exec_lo, exec_lo, s15
	s_delay_alu instid0(SALU_CYCLE_1)
	s_and_b32 s4, s4, exec_lo
                                        ; implicit-def: $vgpr11
	s_or_saveexec_b32 s14, s14
	v_mov_b32_e32 v24, s5
	s_xor_b32 exec_lo, exec_lo, s14
	s_cbranch_execz .LBB4_42
.LBB4_172:
	v_cmp_ne_u16_e32 vcc_lo, 0, v11
	v_mov_b32_e32 v24, 0
	s_and_not1_b32 s4, s4, exec_lo
	s_and_b32 s5, vcc_lo, exec_lo
	s_delay_alu instid0(SALU_CYCLE_1)
	s_or_b32 s4, s4, s5
	s_or_b32 exec_lo, exec_lo, s14
	s_and_saveexec_b32 s5, s4
	s_cbranch_execnz .LBB4_43
	s_branch .LBB4_44
.LBB4_173:
	s_mov_b32 s4, -1
	s_mov_b32 s15, exec_lo
                                        ; implicit-def: $sgpr5
	v_cmpx_eq_u16_e32 0x80, v9
; %bb.174:
	s_movk_i32 s5, 0x7c01
	s_xor_b32 s4, exec_lo, -1
; %bb.175:
	s_or_b32 exec_lo, exec_lo, s15
	s_delay_alu instid0(SALU_CYCLE_1)
	s_and_b32 s4, s4, exec_lo
	s_or_saveexec_b32 s14, s14
	v_mov_b32_e32 v25, s5
	s_xor_b32 exec_lo, exec_lo, s14
	s_cbranch_execz .LBB4_46
.LBB4_176:
	v_cmp_ne_u16_e32 vcc_lo, 0, v9
	v_mov_b32_e32 v25, 0
	s_and_not1_b32 s4, s4, exec_lo
	s_and_b32 s5, vcc_lo, exec_lo
	s_delay_alu instid0(SALU_CYCLE_1)
	s_or_b32 s4, s4, s5
	s_or_b32 exec_lo, exec_lo, s14
	s_and_saveexec_b32 s5, s4
	s_cbranch_execnz .LBB4_47
	s_branch .LBB4_48
.LBB4_177:
	s_mov_b32 s4, -1
	s_mov_b32 s15, exec_lo
                                        ; implicit-def: $sgpr5
	v_cmpx_eq_u16_e32 0x80, v2
; %bb.178:
	s_movk_i32 s5, 0x7c01
	s_xor_b32 s4, exec_lo, -1
; %bb.179:
	s_or_b32 exec_lo, exec_lo, s15
	s_delay_alu instid0(SALU_CYCLE_1)
	s_and_b32 s4, s4, exec_lo
                                        ; implicit-def: $vgpr2
	s_or_saveexec_b32 s14, s14
	v_mov_b32_e32 v26, s5
	s_xor_b32 exec_lo, exec_lo, s14
	s_cbranch_execz .LBB4_50
.LBB4_180:
	v_cmp_ne_u16_e32 vcc_lo, 0, v2
	v_mov_b32_e32 v26, 0
	s_and_not1_b32 s4, s4, exec_lo
	s_and_b32 s5, vcc_lo, exec_lo
	s_delay_alu instid0(SALU_CYCLE_1)
	s_or_b32 s4, s4, s5
	s_or_b32 exec_lo, exec_lo, s14
	s_and_saveexec_b32 s5, s4
	s_cbranch_execnz .LBB4_51
	s_branch .LBB4_52
.LBB4_181:
	s_mov_b32 s4, -1
	s_mov_b32 s15, exec_lo
                                        ; implicit-def: $sgpr5
	v_cmpx_eq_u16_e32 0x80, v9
; %bb.182:
	s_movk_i32 s5, 0x7c01
	s_xor_b32 s4, exec_lo, -1
; %bb.183:
	s_or_b32 exec_lo, exec_lo, s15
	s_delay_alu instid0(SALU_CYCLE_1)
	s_and_b32 s4, s4, exec_lo
                                        ; implicit-def: $vgpr9
	s_or_saveexec_b32 s14, s14
	v_mov_b32_e32 v27, s5
	s_xor_b32 exec_lo, exec_lo, s14
	s_cbranch_execz .LBB4_54
.LBB4_184:
	v_cmp_ne_u16_e32 vcc_lo, 0, v9
	v_mov_b32_e32 v27, 0
	s_and_not1_b32 s4, s4, exec_lo
	s_and_b32 s5, vcc_lo, exec_lo
	s_delay_alu instid0(SALU_CYCLE_1)
	s_or_b32 s4, s4, s5
	s_or_b32 exec_lo, exec_lo, s14
	s_and_saveexec_b32 s5, s4
	s_cbranch_execnz .LBB4_55
	s_branch .LBB4_56
.LBB4_185:
	s_mov_b32 s4, -1
	s_mov_b32 s15, exec_lo
                                        ; implicit-def: $sgpr5
	v_cmpx_eq_u16_e32 0x80, v10
; %bb.186:
	s_movk_i32 s5, 0x7c01
	s_xor_b32 s4, exec_lo, -1
; %bb.187:
	s_or_b32 exec_lo, exec_lo, s15
	s_delay_alu instid0(SALU_CYCLE_1)
	s_and_b32 s4, s4, exec_lo
                                        ; implicit-def: $vgpr10
	s_or_saveexec_b32 s14, s14
	v_mov_b32_e32 v28, s5
	s_xor_b32 exec_lo, exec_lo, s14
	s_cbranch_execz .LBB4_58
.LBB4_188:
	v_cmp_ne_u16_e32 vcc_lo, 0, v10
	v_mov_b32_e32 v28, 0
	s_and_not1_b32 s4, s4, exec_lo
	s_and_b32 s5, vcc_lo, exec_lo
	s_delay_alu instid0(SALU_CYCLE_1)
	s_or_b32 s4, s4, s5
	s_or_b32 exec_lo, exec_lo, s14
	s_and_saveexec_b32 s5, s4
	s_cbranch_execnz .LBB4_59
	s_branch .LBB4_60
.LBB4_189:
	s_mov_b32 s4, -1
	s_mov_b32 s15, exec_lo
                                        ; implicit-def: $sgpr5
	v_cmpx_eq_u16_e32 0x80, v2
; %bb.190:
	s_movk_i32 s5, 0x7c01
	s_xor_b32 s4, exec_lo, -1
; %bb.191:
	s_or_b32 exec_lo, exec_lo, s15
	s_delay_alu instid0(SALU_CYCLE_1)
	s_and_b32 s4, s4, exec_lo
	s_or_saveexec_b32 s14, s14
	v_mov_b32_e32 v29, s5
	s_xor_b32 exec_lo, exec_lo, s14
	s_cbranch_execz .LBB4_62
.LBB4_192:
	v_cmp_ne_u16_e32 vcc_lo, 0, v2
	v_mov_b32_e32 v29, 0
	s_and_not1_b32 s4, s4, exec_lo
	s_and_b32 s5, vcc_lo, exec_lo
	s_delay_alu instid0(SALU_CYCLE_1)
	s_or_b32 s4, s4, s5
	s_or_b32 exec_lo, exec_lo, s14
	s_and_saveexec_b32 s5, s4
	s_cbranch_execnz .LBB4_63
	s_branch .LBB4_64
.LBB4_193:
	s_mov_b32 s4, -1
	s_mov_b32 s15, exec_lo
                                        ; implicit-def: $sgpr5
	v_cmpx_eq_u16_e32 0x80, v9
; %bb.194:
	s_movk_i32 s5, 0x7c01
	s_xor_b32 s4, exec_lo, -1
; %bb.195:
	s_or_b32 exec_lo, exec_lo, s15
	s_delay_alu instid0(SALU_CYCLE_1)
	s_and_b32 s4, s4, exec_lo
                                        ; implicit-def: $vgpr9
	s_or_saveexec_b32 s14, s14
	v_mov_b32_e32 v30, s5
	s_xor_b32 exec_lo, exec_lo, s14
	s_cbranch_execz .LBB4_66
.LBB4_196:
	v_cmp_ne_u16_e32 vcc_lo, 0, v9
	v_mov_b32_e32 v30, v9
	s_and_not1_b32 s4, s4, exec_lo
	s_and_b32 s5, vcc_lo, exec_lo
	s_delay_alu instid0(SALU_CYCLE_1)
	s_or_b32 s4, s4, s5
	s_or_b32 exec_lo, exec_lo, s14
	s_and_saveexec_b32 s5, s4
	s_cbranch_execnz .LBB4_67
	s_branch .LBB4_68
.LBB4_197:
	s_mov_b32 s4, -1
	s_mov_b32 s15, exec_lo
                                        ; implicit-def: $sgpr5
	v_cmpx_eq_u16_e32 0x80, v10
; %bb.198:
	s_movk_i32 s5, 0x7c01
	s_xor_b32 s4, exec_lo, -1
; %bb.199:
	s_or_b32 exec_lo, exec_lo, s15
	s_delay_alu instid0(SALU_CYCLE_1)
	s_and_b32 s4, s4, exec_lo
                                        ; implicit-def: $vgpr10
	s_or_saveexec_b32 s14, s14
	v_mov_b32_e32 v31, s5
	s_xor_b32 exec_lo, exec_lo, s14
	s_cbranch_execz .LBB4_70
.LBB4_200:
	v_cmp_ne_u16_e32 vcc_lo, 0, v10
	v_mov_b32_e32 v31, 0
	s_and_not1_b32 s4, s4, exec_lo
	s_and_b32 s5, vcc_lo, exec_lo
	s_delay_alu instid0(SALU_CYCLE_1)
	s_or_b32 s4, s4, s5
	s_or_b32 exec_lo, exec_lo, s14
	s_and_saveexec_b32 s5, s4
	s_cbranch_execnz .LBB4_71
	s_branch .LBB4_72
.LBB4_201:
	s_mov_b32 s4, -1
	s_mov_b32 s15, exec_lo
                                        ; implicit-def: $sgpr5
	v_cmpx_eq_u16_e32 0x80, v11
; %bb.202:
	s_movk_i32 s5, 0x7c01
	s_xor_b32 s4, exec_lo, -1
; %bb.203:
	s_or_b32 exec_lo, exec_lo, s15
	s_delay_alu instid0(SALU_CYCLE_1)
	s_and_b32 s4, s4, exec_lo
                                        ; implicit-def: $vgpr11
	s_or_saveexec_b32 s14, s14
	v_mov_b32_e32 v32, s5
	s_xor_b32 exec_lo, exec_lo, s14
	s_cbranch_execz .LBB4_74
.LBB4_204:
	v_cmp_ne_u16_e32 vcc_lo, 0, v11
	v_mov_b32_e32 v32, 0
	s_and_not1_b32 s4, s4, exec_lo
	s_and_b32 s5, vcc_lo, exec_lo
	s_delay_alu instid0(SALU_CYCLE_1)
	s_or_b32 s4, s4, s5
	s_or_b32 exec_lo, exec_lo, s14
	s_and_saveexec_b32 s5, s4
	s_cbranch_execnz .LBB4_75
	s_branch .LBB4_76
.LBB4_205:
	s_mov_b32 s4, -1
	s_mov_b32 s15, exec_lo
                                        ; implicit-def: $sgpr5
	v_cmpx_eq_u16_e32 0x80, v9
; %bb.206:
	s_movk_i32 s5, 0x7c01
	s_xor_b32 s4, exec_lo, -1
; %bb.207:
	s_or_b32 exec_lo, exec_lo, s15
	s_delay_alu instid0(SALU_CYCLE_1)
	s_and_b32 s4, s4, exec_lo
	s_or_saveexec_b32 s14, s14
	v_mov_b32_e32 v33, s5
	s_xor_b32 exec_lo, exec_lo, s14
	s_cbranch_execz .LBB4_78
.LBB4_208:
	v_cmp_ne_u16_e32 vcc_lo, 0, v9
	v_mov_b32_e32 v33, 0
	s_and_not1_b32 s4, s4, exec_lo
	s_and_b32 s5, vcc_lo, exec_lo
	s_delay_alu instid0(SALU_CYCLE_1)
	s_or_b32 s4, s4, s5
	s_or_b32 exec_lo, exec_lo, s14
	s_and_saveexec_b32 s5, s4
	s_cbranch_execnz .LBB4_79
	s_branch .LBB4_80
.LBB4_209:
	s_mov_b32 s4, -1
	s_mov_b32 s15, exec_lo
                                        ; implicit-def: $sgpr5
	v_cmpx_eq_u16_e32 0x80, v2
; %bb.210:
	s_movk_i32 s5, 0x7c01
	s_xor_b32 s4, exec_lo, -1
; %bb.211:
	s_or_b32 exec_lo, exec_lo, s15
	s_delay_alu instid0(SALU_CYCLE_1)
	s_and_b32 s4, s4, exec_lo
                                        ; implicit-def: $vgpr2
	s_or_saveexec_b32 s14, s14
	v_mov_b32_e32 v34, s5
	s_xor_b32 exec_lo, exec_lo, s14
	s_cbranch_execz .LBB4_82
.LBB4_212:
	v_cmp_ne_u16_e32 vcc_lo, 0, v2
	v_mov_b32_e32 v34, 0
	s_and_not1_b32 s4, s4, exec_lo
	s_and_b32 s5, vcc_lo, exec_lo
	s_delay_alu instid0(SALU_CYCLE_1)
	s_or_b32 s4, s4, s5
	s_or_b32 exec_lo, exec_lo, s14
	s_and_saveexec_b32 s5, s4
	s_cbranch_execnz .LBB4_83
	s_branch .LBB4_84
.LBB4_213:
	s_mov_b32 s4, -1
	s_mov_b32 s15, exec_lo
                                        ; implicit-def: $sgpr5
	v_cmpx_eq_u16_e32 0x80, v9
; %bb.214:
	s_movk_i32 s5, 0x7c01
	s_xor_b32 s4, exec_lo, -1
; %bb.215:
	s_or_b32 exec_lo, exec_lo, s15
	s_delay_alu instid0(SALU_CYCLE_1)
	s_and_b32 s4, s4, exec_lo
                                        ; implicit-def: $vgpr9
	s_or_saveexec_b32 s14, s14
	v_mov_b32_e32 v35, s5
	s_xor_b32 exec_lo, exec_lo, s14
	s_cbranch_execz .LBB4_86
.LBB4_216:
	v_cmp_ne_u16_e32 vcc_lo, 0, v9
	v_mov_b32_e32 v35, 0
	s_and_not1_b32 s4, s4, exec_lo
	s_and_b32 s5, vcc_lo, exec_lo
	s_delay_alu instid0(SALU_CYCLE_1)
	s_or_b32 s4, s4, s5
	s_or_b32 exec_lo, exec_lo, s14
	s_and_saveexec_b32 s5, s4
	s_cbranch_execnz .LBB4_87
	s_branch .LBB4_88
.LBB4_217:
	s_mov_b32 s4, -1
	s_mov_b32 s15, exec_lo
                                        ; implicit-def: $sgpr5
	v_cmpx_eq_u16_e32 0x80, v10
; %bb.218:
	s_movk_i32 s5, 0x7c01
	s_xor_b32 s4, exec_lo, -1
; %bb.219:
	s_or_b32 exec_lo, exec_lo, s15
	s_delay_alu instid0(SALU_CYCLE_1)
	s_and_b32 s4, s4, exec_lo
                                        ; implicit-def: $vgpr10
	s_or_saveexec_b32 s14, s14
	v_mov_b32_e32 v36, s5
	s_xor_b32 exec_lo, exec_lo, s14
	s_cbranch_execz .LBB4_90
.LBB4_220:
	v_cmp_ne_u16_e32 vcc_lo, 0, v10
	v_mov_b32_e32 v36, 0
	s_and_not1_b32 s4, s4, exec_lo
	s_and_b32 s5, vcc_lo, exec_lo
	s_delay_alu instid0(SALU_CYCLE_1)
	s_or_b32 s4, s4, s5
	s_or_b32 exec_lo, exec_lo, s14
	s_and_saveexec_b32 s5, s4
	s_cbranch_execnz .LBB4_91
	s_branch .LBB4_92
.LBB4_221:
	s_mov_b32 s4, -1
	s_mov_b32 s15, exec_lo
                                        ; implicit-def: $sgpr5
	v_cmpx_eq_u16_e32 0x80, v2
; %bb.222:
	s_movk_i32 s5, 0x7c01
	s_xor_b32 s4, exec_lo, -1
; %bb.223:
	s_or_b32 exec_lo, exec_lo, s15
	s_delay_alu instid0(SALU_CYCLE_1)
	s_and_b32 s4, s4, exec_lo
	s_or_saveexec_b32 s14, s14
	v_mov_b32_e32 v37, s5
	s_xor_b32 exec_lo, exec_lo, s14
	s_cbranch_execz .LBB4_94
.LBB4_224:
	v_cmp_ne_u16_e32 vcc_lo, 0, v2
	v_mov_b32_e32 v37, 0
	s_and_not1_b32 s4, s4, exec_lo
	s_and_b32 s5, vcc_lo, exec_lo
	s_delay_alu instid0(SALU_CYCLE_1)
	s_or_b32 s4, s4, s5
	s_or_b32 exec_lo, exec_lo, s14
	s_and_saveexec_b32 s5, s4
	s_cbranch_execnz .LBB4_95
	s_branch .LBB4_96
.LBB4_225:
	s_mov_b32 s0, -1
	s_mov_b32 s3, exec_lo
                                        ; implicit-def: $sgpr1
	v_cmpx_eq_u16_e32 0x80, v8
; %bb.226:
	s_movk_i32 s1, 0x7c01
	s_xor_b32 s0, exec_lo, -1
; %bb.227:
	s_or_b32 exec_lo, exec_lo, s3
	s_delay_alu instid0(SALU_CYCLE_1)
	s_and_b32 s0, s0, exec_lo
                                        ; implicit-def: $vgpr8
	s_or_saveexec_b32 s2, s2
	v_mov_b32_e32 v38, s1
	s_xor_b32 exec_lo, exec_lo, s2
	s_cbranch_execz .LBB4_98
.LBB4_228:
	v_cmp_ne_u16_e32 vcc_lo, 0, v8
	v_mov_b32_e32 v38, 0
	s_and_not1_b32 s0, s0, exec_lo
	s_and_b32 s1, vcc_lo, exec_lo
	s_delay_alu instid0(SALU_CYCLE_1)
	s_or_b32 s0, s0, s1
	s_or_b32 exec_lo, exec_lo, s2
	s_and_saveexec_b32 s1, s0
	s_cbranch_execnz .LBB4_99
	s_branch .LBB4_100
.LBB4_229:
	s_mov_b32 s0, -1
	s_mov_b32 s3, exec_lo
                                        ; implicit-def: $sgpr1
	v_cmpx_eq_u16_e32 0x80, v9
; %bb.230:
	s_movk_i32 s1, 0x7c01
	s_xor_b32 s0, exec_lo, -1
; %bb.231:
	s_or_b32 exec_lo, exec_lo, s3
	s_delay_alu instid0(SALU_CYCLE_1)
	s_and_b32 s0, s0, exec_lo
                                        ; implicit-def: $vgpr9
	s_or_saveexec_b32 s2, s2
	v_mov_b32_e32 v39, s1
	s_xor_b32 exec_lo, exec_lo, s2
	s_cbranch_execz .LBB4_102
.LBB4_232:
	v_cmp_ne_u16_e32 vcc_lo, 0, v9
	v_mov_b32_e32 v39, 0
	s_and_not1_b32 s0, s0, exec_lo
	s_and_b32 s1, vcc_lo, exec_lo
	s_delay_alu instid0(SALU_CYCLE_1)
	s_or_b32 s0, s0, s1
	s_or_b32 exec_lo, exec_lo, s2
	s_and_saveexec_b32 s1, s0
	s_cbranch_execnz .LBB4_103
	s_branch .LBB4_104
.LBB4_233:
	s_mov_b32 s0, -1
	s_mov_b32 s3, exec_lo
                                        ; implicit-def: $sgpr1
	v_cmpx_eq_u16_e32 0x80, v10
; %bb.234:
	s_movk_i32 s1, 0x7c01
	s_xor_b32 s0, exec_lo, -1
; %bb.235:
	s_or_b32 exec_lo, exec_lo, s3
	s_delay_alu instid0(SALU_CYCLE_1)
	s_and_b32 s0, s0, exec_lo
                                        ; implicit-def: $vgpr10
	s_or_saveexec_b32 s2, s2
	v_mov_b32_e32 v40, s1
	s_xor_b32 exec_lo, exec_lo, s2
	s_cbranch_execz .LBB4_106
.LBB4_236:
	v_cmp_ne_u16_e32 vcc_lo, 0, v10
	v_mov_b32_e32 v40, 0
	s_and_not1_b32 s0, s0, exec_lo
	s_and_b32 s1, vcc_lo, exec_lo
	s_delay_alu instid0(SALU_CYCLE_1)
	s_or_b32 s0, s0, s1
	s_or_b32 exec_lo, exec_lo, s2
	s_and_saveexec_b32 s1, s0
	s_cbranch_execnz .LBB4_107
	s_branch .LBB4_108
.LBB4_237:
	s_mov_b32 s0, -1
	s_mov_b32 s3, exec_lo
                                        ; implicit-def: $sgpr1
	v_cmpx_eq_u16_e32 0x80, v8
; %bb.238:
	s_movk_i32 s1, 0x7c01
	s_xor_b32 s0, exec_lo, -1
; %bb.239:
	s_or_b32 exec_lo, exec_lo, s3
	s_delay_alu instid0(SALU_CYCLE_1)
	s_and_b32 s0, s0, exec_lo
	s_or_saveexec_b32 s2, s2
	v_mov_b32_e32 v44, s1
	s_xor_b32 exec_lo, exec_lo, s2
	s_cbranch_execz .LBB4_110
.LBB4_240:
	v_cmp_ne_u16_e32 vcc_lo, 0, v8
	v_mov_b32_e32 v44, 0
	s_and_not1_b32 s0, s0, exec_lo
	s_and_b32 s1, vcc_lo, exec_lo
	s_delay_alu instid0(SALU_CYCLE_1)
	s_or_b32 s0, s0, s1
	s_or_b32 exec_lo, exec_lo, s2
	s_and_saveexec_b32 s1, s0
	s_cbranch_execnz .LBB4_111
	s_branch .LBB4_112
.LBB4_241:
	s_mov_b32 s0, -1
	s_mov_b32 s3, exec_lo
                                        ; implicit-def: $sgpr1
	v_cmpx_eq_u16_e32 0x80, v8
; %bb.242:
	s_movk_i32 s1, 0x7c01
	s_xor_b32 s0, exec_lo, -1
; %bb.243:
	s_or_b32 exec_lo, exec_lo, s3
	s_delay_alu instid0(SALU_CYCLE_1)
	s_and_b32 s0, s0, exec_lo
                                        ; implicit-def: $vgpr8
	s_or_saveexec_b32 s2, s2
	v_mov_b32_e32 v2, s1
	s_xor_b32 exec_lo, exec_lo, s2
	s_cbranch_execz .LBB4_114
.LBB4_244:
	v_cmp_ne_u16_e32 vcc_lo, 0, v8
	v_mov_b32_e32 v2, 0
	s_and_not1_b32 s0, s0, exec_lo
	s_and_b32 s1, vcc_lo, exec_lo
	s_delay_alu instid0(SALU_CYCLE_1)
	s_or_b32 s0, s0, s1
	s_or_b32 exec_lo, exec_lo, s2
	s_and_saveexec_b32 s1, s0
	s_cbranch_execnz .LBB4_115
	s_branch .LBB4_116
.LBB4_245:
	s_mov_b32 s0, -1
	s_mov_b32 s3, exec_lo
                                        ; implicit-def: $sgpr1
	v_cmpx_eq_u16_e32 0x80, v9
; %bb.246:
	s_movk_i32 s1, 0x7c01
	s_xor_b32 s0, exec_lo, -1
; %bb.247:
	s_or_b32 exec_lo, exec_lo, s3
	s_delay_alu instid0(SALU_CYCLE_1)
	s_and_b32 s0, s0, exec_lo
                                        ; implicit-def: $vgpr9
	s_or_saveexec_b32 s2, s2
	v_mov_b32_e32 v45, s1
	s_xor_b32 exec_lo, exec_lo, s2
	s_cbranch_execz .LBB4_118
.LBB4_248:
	v_cmp_ne_u16_e32 vcc_lo, 0, v9
	v_mov_b32_e32 v45, 0
	s_and_not1_b32 s0, s0, exec_lo
	s_and_b32 s1, vcc_lo, exec_lo
	s_delay_alu instid0(SALU_CYCLE_1)
	s_or_b32 s0, s0, s1
	s_or_b32 exec_lo, exec_lo, s2
	s_and_saveexec_b32 s1, s0
	s_cbranch_execnz .LBB4_119
	s_branch .LBB4_120
.LBB4_249:
	s_mov_b32 s0, -1
	s_mov_b32 s3, exec_lo
                                        ; implicit-def: $sgpr1
	v_cmpx_eq_u16_e32 0x80, v10
; %bb.250:
	s_movk_i32 s1, 0x7c01
	s_xor_b32 s0, exec_lo, -1
; %bb.251:
	s_or_b32 exec_lo, exec_lo, s3
	s_delay_alu instid0(SALU_CYCLE_1)
	s_and_b32 s0, s0, exec_lo
                                        ; implicit-def: $vgpr10
	s_or_saveexec_b32 s2, s2
	v_mov_b32_e32 v46, s1
	s_xor_b32 exec_lo, exec_lo, s2
	s_cbranch_execz .LBB4_122
.LBB4_252:
	v_cmp_ne_u16_e32 vcc_lo, 0, v10
	v_mov_b32_e32 v46, 0
	s_and_not1_b32 s0, s0, exec_lo
	s_and_b32 s1, vcc_lo, exec_lo
	s_delay_alu instid0(SALU_CYCLE_1)
	s_or_b32 s0, s0, s1
	s_or_b32 exec_lo, exec_lo, s2
	s_and_saveexec_b32 s1, s0
	s_cbranch_execnz .LBB4_123
	s_branch .LBB4_124
.LBB4_253:
	s_mov_b32 s0, -1
	s_mov_b32 s3, exec_lo
                                        ; implicit-def: $sgpr1
	v_cmpx_eq_u16_e32 0x80, v8
; %bb.254:
	s_movk_i32 s1, 0x7c01
	s_xor_b32 s0, exec_lo, -1
; %bb.255:
	s_or_b32 exec_lo, exec_lo, s3
	s_delay_alu instid0(SALU_CYCLE_1)
	s_and_b32 s0, s0, exec_lo
	s_or_saveexec_b32 s2, s2
	v_mov_b32_e32 v47, s1
	s_xor_b32 exec_lo, exec_lo, s2
	s_cbranch_execz .LBB4_126
.LBB4_256:
	v_cmp_ne_u16_e32 vcc_lo, 0, v8
	v_mov_b32_e32 v47, 0
	s_and_not1_b32 s0, s0, exec_lo
	s_and_b32 s1, vcc_lo, exec_lo
	s_delay_alu instid0(SALU_CYCLE_1)
	s_or_b32 s0, s0, s1
	s_or_b32 exec_lo, exec_lo, s2
	s_and_saveexec_b32 s1, s0
	s_cbranch_execnz .LBB4_127
	s_branch .LBB4_128
	.section	.rodata,"a",@progbits
	.p2align	6, 0x0
	.amdhsa_kernel _ZN2ck27kernel_gemm_xdl_cshuffle_v1INS_43GridwiseGemm_k0mk1_k0nk1_mn_xdl_cshuffle_v1INS_13tensor_layout4gemm8RowMajorENS3_11ColumnMajorES4_NS_9f8_fnuz_tEDF16_fDF16_DF16_NS_16tensor_operation12element_wise11PassThroughES9_S9_LNS7_6device18GemmSpecializationE0ELNS_25InMemoryDataOperationEnumE0ELi1ELi256ELi256ELi128ELi32ELi8ELi8ELi16ELi16ELi8ELi2ENS_8SequenceIJLi4ELi64ELi1EEEENSD_IJLi1ELi0ELi2EEEESF_Li2ELi8ELi8ELb0ELi1ESE_SF_SF_Li2ELi8ELi8ELb0ELi1ELi1ELi1ENSD_IJLi1ELi32ELi1ELi8EEEELi4ELNS_13LoopSchedulerE0ELNS_15PipelineVersionE0EDF16_DF16_EELb0EEEvNT_8ArgumentE
		.amdhsa_group_segment_fixed_size 24672
		.amdhsa_private_segment_fixed_size 0
		.amdhsa_kernarg_size 96
		.amdhsa_user_sgpr_count 15
		.amdhsa_user_sgpr_dispatch_ptr 0
		.amdhsa_user_sgpr_queue_ptr 0
		.amdhsa_user_sgpr_kernarg_segment_ptr 1
		.amdhsa_user_sgpr_dispatch_id 0
		.amdhsa_user_sgpr_private_segment_size 0
		.amdhsa_wavefront_size32 1
		.amdhsa_uses_dynamic_stack 0
		.amdhsa_enable_private_segment 0
		.amdhsa_system_sgpr_workgroup_id_x 1
		.amdhsa_system_sgpr_workgroup_id_y 0
		.amdhsa_system_sgpr_workgroup_id_z 0
		.amdhsa_system_sgpr_workgroup_info 0
		.amdhsa_system_vgpr_workitem_id 0
		.amdhsa_next_free_vgpr 184
		.amdhsa_next_free_sgpr 21
		.amdhsa_reserve_vcc 1
		.amdhsa_float_round_mode_32 0
		.amdhsa_float_round_mode_16_64 0
		.amdhsa_float_denorm_mode_32 3
		.amdhsa_float_denorm_mode_16_64 3
		.amdhsa_dx10_clamp 1
		.amdhsa_ieee_mode 1
		.amdhsa_fp16_overflow 0
		.amdhsa_workgroup_processor_mode 1
		.amdhsa_memory_ordered 1
		.amdhsa_forward_progress 0
		.amdhsa_shared_vgpr_count 0
		.amdhsa_exception_fp_ieee_invalid_op 0
		.amdhsa_exception_fp_denorm_src 0
		.amdhsa_exception_fp_ieee_div_zero 0
		.amdhsa_exception_fp_ieee_overflow 0
		.amdhsa_exception_fp_ieee_underflow 0
		.amdhsa_exception_fp_ieee_inexact 0
		.amdhsa_exception_int_div_zero 0
	.end_amdhsa_kernel
	.section	.text._ZN2ck27kernel_gemm_xdl_cshuffle_v1INS_43GridwiseGemm_k0mk1_k0nk1_mn_xdl_cshuffle_v1INS_13tensor_layout4gemm8RowMajorENS3_11ColumnMajorES4_NS_9f8_fnuz_tEDF16_fDF16_DF16_NS_16tensor_operation12element_wise11PassThroughES9_S9_LNS7_6device18GemmSpecializationE0ELNS_25InMemoryDataOperationEnumE0ELi1ELi256ELi256ELi128ELi32ELi8ELi8ELi16ELi16ELi8ELi2ENS_8SequenceIJLi4ELi64ELi1EEEENSD_IJLi1ELi0ELi2EEEESF_Li2ELi8ELi8ELb0ELi1ESE_SF_SF_Li2ELi8ELi8ELb0ELi1ELi1ELi1ENSD_IJLi1ELi32ELi1ELi8EEEELi4ELNS_13LoopSchedulerE0ELNS_15PipelineVersionE0EDF16_DF16_EELb0EEEvNT_8ArgumentE,"axG",@progbits,_ZN2ck27kernel_gemm_xdl_cshuffle_v1INS_43GridwiseGemm_k0mk1_k0nk1_mn_xdl_cshuffle_v1INS_13tensor_layout4gemm8RowMajorENS3_11ColumnMajorES4_NS_9f8_fnuz_tEDF16_fDF16_DF16_NS_16tensor_operation12element_wise11PassThroughES9_S9_LNS7_6device18GemmSpecializationE0ELNS_25InMemoryDataOperationEnumE0ELi1ELi256ELi256ELi128ELi32ELi8ELi8ELi16ELi16ELi8ELi2ENS_8SequenceIJLi4ELi64ELi1EEEENSD_IJLi1ELi0ELi2EEEESF_Li2ELi8ELi8ELb0ELi1ESE_SF_SF_Li2ELi8ELi8ELb0ELi1ELi1ELi1ENSD_IJLi1ELi32ELi1ELi8EEEELi4ELNS_13LoopSchedulerE0ELNS_15PipelineVersionE0EDF16_DF16_EELb0EEEvNT_8ArgumentE,comdat
.Lfunc_end4:
	.size	_ZN2ck27kernel_gemm_xdl_cshuffle_v1INS_43GridwiseGemm_k0mk1_k0nk1_mn_xdl_cshuffle_v1INS_13tensor_layout4gemm8RowMajorENS3_11ColumnMajorES4_NS_9f8_fnuz_tEDF16_fDF16_DF16_NS_16tensor_operation12element_wise11PassThroughES9_S9_LNS7_6device18GemmSpecializationE0ELNS_25InMemoryDataOperationEnumE0ELi1ELi256ELi256ELi128ELi32ELi8ELi8ELi16ELi16ELi8ELi2ENS_8SequenceIJLi4ELi64ELi1EEEENSD_IJLi1ELi0ELi2EEEESF_Li2ELi8ELi8ELb0ELi1ESE_SF_SF_Li2ELi8ELi8ELb0ELi1ELi1ELi1ENSD_IJLi1ELi32ELi1ELi8EEEELi4ELNS_13LoopSchedulerE0ELNS_15PipelineVersionE0EDF16_DF16_EELb0EEEvNT_8ArgumentE, .Lfunc_end4-_ZN2ck27kernel_gemm_xdl_cshuffle_v1INS_43GridwiseGemm_k0mk1_k0nk1_mn_xdl_cshuffle_v1INS_13tensor_layout4gemm8RowMajorENS3_11ColumnMajorES4_NS_9f8_fnuz_tEDF16_fDF16_DF16_NS_16tensor_operation12element_wise11PassThroughES9_S9_LNS7_6device18GemmSpecializationE0ELNS_25InMemoryDataOperationEnumE0ELi1ELi256ELi256ELi128ELi32ELi8ELi8ELi16ELi16ELi8ELi2ENS_8SequenceIJLi4ELi64ELi1EEEENSD_IJLi1ELi0ELi2EEEESF_Li2ELi8ELi8ELb0ELi1ESE_SF_SF_Li2ELi8ELi8ELb0ELi1ELi1ELi1ENSD_IJLi1ELi32ELi1ELi8EEEELi4ELNS_13LoopSchedulerE0ELNS_15PipelineVersionE0EDF16_DF16_EELb0EEEvNT_8ArgumentE
                                        ; -- End function
	.section	.AMDGPU.csdata,"",@progbits
; Kernel info:
; codeLenInByte = 13360
; NumSgprs: 23
; NumVgprs: 184
; ScratchSize: 0
; MemoryBound: 0
; FloatMode: 240
; IeeeMode: 1
; LDSByteSize: 24672 bytes/workgroup (compile time only)
; SGPRBlocks: 2
; VGPRBlocks: 22
; NumSGPRsForWavesPerEU: 23
; NumVGPRsForWavesPerEU: 184
; Occupancy: 8
; WaveLimiterHint : 0
; COMPUTE_PGM_RSRC2:SCRATCH_EN: 0
; COMPUTE_PGM_RSRC2:USER_SGPR: 15
; COMPUTE_PGM_RSRC2:TRAP_HANDLER: 0
; COMPUTE_PGM_RSRC2:TGID_X_EN: 1
; COMPUTE_PGM_RSRC2:TGID_Y_EN: 0
; COMPUTE_PGM_RSRC2:TGID_Z_EN: 0
; COMPUTE_PGM_RSRC2:TIDIG_COMP_CNT: 0
	.section	.text._ZN2ck17naive_gemm_kernelINS_13tensor_layout4gemm8RowMajorENS2_11ColumnMajorES3_NS_9f8_fnuz_tEDF16_DF16_fNS_16tensor_operation12element_wise11PassThroughES8_S8_DF16_DF16_EEvPKT2_PKT3_PT4_iiiT6_T7_T8_,"axG",@progbits,_ZN2ck17naive_gemm_kernelINS_13tensor_layout4gemm8RowMajorENS2_11ColumnMajorES3_NS_9f8_fnuz_tEDF16_DF16_fNS_16tensor_operation12element_wise11PassThroughES8_S8_DF16_DF16_EEvPKT2_PKT3_PT4_iiiT6_T7_T8_,comdat
	.protected	_ZN2ck17naive_gemm_kernelINS_13tensor_layout4gemm8RowMajorENS2_11ColumnMajorES3_NS_9f8_fnuz_tEDF16_DF16_fNS_16tensor_operation12element_wise11PassThroughES8_S8_DF16_DF16_EEvPKT2_PKT3_PT4_iiiT6_T7_T8_ ; -- Begin function _ZN2ck17naive_gemm_kernelINS_13tensor_layout4gemm8RowMajorENS2_11ColumnMajorES3_NS_9f8_fnuz_tEDF16_DF16_fNS_16tensor_operation12element_wise11PassThroughES8_S8_DF16_DF16_EEvPKT2_PKT3_PT4_iiiT6_T7_T8_
	.globl	_ZN2ck17naive_gemm_kernelINS_13tensor_layout4gemm8RowMajorENS2_11ColumnMajorES3_NS_9f8_fnuz_tEDF16_DF16_fNS_16tensor_operation12element_wise11PassThroughES8_S8_DF16_DF16_EEvPKT2_PKT3_PT4_iiiT6_T7_T8_
	.p2align	8
	.type	_ZN2ck17naive_gemm_kernelINS_13tensor_layout4gemm8RowMajorENS2_11ColumnMajorES3_NS_9f8_fnuz_tEDF16_DF16_fNS_16tensor_operation12element_wise11PassThroughES8_S8_DF16_DF16_EEvPKT2_PKT3_PT4_iiiT6_T7_T8_,@function
_ZN2ck17naive_gemm_kernelINS_13tensor_layout4gemm8RowMajorENS2_11ColumnMajorES3_NS_9f8_fnuz_tEDF16_DF16_fNS_16tensor_operation12element_wise11PassThroughES8_S8_DF16_DF16_EEvPKT2_PKT3_PT4_iiiT6_T7_T8_: ; @_ZN2ck17naive_gemm_kernelINS_13tensor_layout4gemm8RowMajorENS2_11ColumnMajorES3_NS_9f8_fnuz_tEDF16_DF16_fNS_16tensor_operation12element_wise11PassThroughES8_S8_DF16_DF16_EEvPKT2_PKT3_PT4_iiiT6_T7_T8_
; %bb.0:
	s_clause 0x1
	s_load_b32 s2, s[0:1], 0x34
	s_load_b128 s[4:7], s[0:1], 0x18
	v_and_b32_e32 v2, 0x3ff, v0
	v_bfe_u32 v3, v0, 10, 10
	s_waitcnt lgkmcnt(0)
	s_lshr_b32 s3, s2, 16
	s_and_b32 s2, s2, 0xffff
	s_delay_alu instid0(VALU_DEP_1) | instid1(SALU_CYCLE_1)
	v_mad_u64_u32 v[0:1], null, s14, s2, v[2:3]
	v_mad_u64_u32 v[1:2], null, s15, s3, v[3:4]
	s_delay_alu instid0(VALU_DEP_2) | instskip(NEXT) | instid1(VALU_DEP_2)
	v_cmp_gt_i32_e32 vcc_lo, s4, v0
	v_cmp_gt_i32_e64 s2, s5, v1
	s_delay_alu instid0(VALU_DEP_1) | instskip(NEXT) | instid1(SALU_CYCLE_1)
	s_and_b32 s2, vcc_lo, s2
	s_and_saveexec_b32 s3, s2
	s_cbranch_execz .LBB5_15
; %bb.1:
	s_load_b64 s[8:9], s[0:1], 0x10
	s_cmp_lt_i32 s6, 1
	s_cbranch_scc1 .LBB5_13
; %bb.2:
	s_load_b128 s[0:3], s[0:1], 0x0
	v_mul_lo_u32 v3, v0, s6
	v_mul_lo_u32 v2, v1, s6
	v_mov_b32_e32 v6, 0
	s_delay_alu instid0(VALU_DEP_3) | instskip(SKIP_2) | instid1(VALU_DEP_2)
	v_ashrrev_i32_e32 v5, 31, v3
	s_waitcnt lgkmcnt(0)
	v_add_co_u32 v4, vcc_lo, s0, v3
	v_add_co_ci_u32_e32 v5, vcc_lo, s1, v5, vcc_lo
	s_branch .LBB5_4
.LBB5_3:                                ;   in Loop: Header=BB5_4 Depth=1
	s_or_b32 exec_lo, exec_lo, s1
	v_ashrrev_i32_e32 v3, 31, v2
	s_add_i32 s6, s6, -1
	s_delay_alu instid0(SALU_CYCLE_1) | instskip(NEXT) | instid1(VALU_DEP_1)
	s_cmp_eq_u32 s6, 0
	v_lshlrev_b64 v[8:9], 1, v[2:3]
	v_add_nc_u32_e32 v2, 1, v2
	s_delay_alu instid0(VALU_DEP_2) | instskip(NEXT) | instid1(VALU_DEP_3)
	v_add_co_u32 v8, vcc_lo, s2, v8
	v_add_co_ci_u32_e32 v9, vcc_lo, s3, v9, vcc_lo
	v_add_co_u32 v4, vcc_lo, v4, 1
	v_add_co_ci_u32_e32 v5, vcc_lo, 0, v5, vcc_lo
	global_load_u16 v3, v[8:9], off
	s_waitcnt vmcnt(0)
	v_fma_mix_f32 v6, v7, v3, v6 op_sel_hi:[1,1,0]
	s_cbranch_scc1 .LBB5_12
.LBB5_4:                                ; =>This Inner Loop Header: Depth=1
	global_load_u8 v3, v[4:5], off
	s_mov_b32 s0, 0
	s_mov_b32 s4, exec_lo
                                        ; implicit-def: $sgpr1
	s_waitcnt vmcnt(0)
	v_cmpx_lt_i16_e32 0x7f, v3
	s_xor_b32 s4, exec_lo, s4
	s_cbranch_execnz .LBB5_7
; %bb.5:                                ;   in Loop: Header=BB5_4 Depth=1
	s_or_saveexec_b32 s4, s4
	v_mov_b32_e32 v7, s1
	s_xor_b32 exec_lo, exec_lo, s4
	s_cbranch_execnz .LBB5_10
.LBB5_6:                                ;   in Loop: Header=BB5_4 Depth=1
	s_or_b32 exec_lo, exec_lo, s4
	s_and_saveexec_b32 s1, s0
	s_cbranch_execz .LBB5_3
	s_branch .LBB5_11
.LBB5_7:                                ;   in Loop: Header=BB5_4 Depth=1
	s_mov_b32 s0, -1
	s_mov_b32 s7, exec_lo
                                        ; implicit-def: $sgpr1
	v_cmpx_eq_u16_e32 0x80, v3
; %bb.8:                                ;   in Loop: Header=BB5_4 Depth=1
	s_movk_i32 s1, 0x7c01
	s_xor_b32 s0, exec_lo, -1
; %bb.9:                                ;   in Loop: Header=BB5_4 Depth=1
	s_or_b32 exec_lo, exec_lo, s7
	s_delay_alu instid0(SALU_CYCLE_1)
	s_and_b32 s0, s0, exec_lo
	s_or_saveexec_b32 s4, s4
	v_mov_b32_e32 v7, s1
	s_xor_b32 exec_lo, exec_lo, s4
	s_cbranch_execz .LBB5_6
.LBB5_10:                               ;   in Loop: Header=BB5_4 Depth=1
	v_cmp_ne_u16_e32 vcc_lo, 0, v3
	v_mov_b32_e32 v7, 0
	s_and_not1_b32 s0, s0, exec_lo
	s_and_b32 s1, vcc_lo, exec_lo
	s_delay_alu instid0(SALU_CYCLE_1)
	s_or_b32 s0, s0, s1
	s_or_b32 exec_lo, exec_lo, s4
	s_and_saveexec_b32 s1, s0
	s_cbranch_execz .LBB5_3
.LBB5_11:                               ;   in Loop: Header=BB5_4 Depth=1
	v_lshrrev_b16 v9, 3, v3
	s_delay_alu instid0(VALU_DEP_1) | instskip(NEXT) | instid1(VALU_DEP_1)
	v_and_b32_e32 v9, 15, v9
	v_and_b32_e32 v11, 0xffff, v9
	v_cmp_eq_u16_e32 vcc_lo, 0, v9
	v_and_b32_e32 v7, 7, v3
	v_lshrrev_b16 v3, 7, v3
	s_delay_alu instid0(VALU_DEP_2) | instskip(NEXT) | instid1(VALU_DEP_2)
	v_clz_i32_u32_e32 v8, v7
	v_lshlrev_b32_e32 v3, 15, v3
	s_delay_alu instid0(VALU_DEP_2) | instskip(NEXT) | instid1(VALU_DEP_1)
	v_min_u32_e32 v8, 32, v8
	v_subrev_nc_u32_e32 v10, 28, v8
	v_sub_nc_u32_e32 v8, 29, v8
	s_delay_alu instid0(VALU_DEP_1) | instskip(NEXT) | instid1(VALU_DEP_3)
	v_cndmask_b32_e32 v8, v11, v8, vcc_lo
	v_lshlrev_b32_e32 v10, v10, v7
	s_delay_alu instid0(VALU_DEP_2) | instskip(NEXT) | instid1(VALU_DEP_2)
	v_lshl_add_u32 v8, v8, 10, 0x1c00
	v_and_b32_e32 v10, 7, v10
	s_delay_alu instid0(VALU_DEP_1) | instskip(NEXT) | instid1(VALU_DEP_1)
	v_cndmask_b32_e32 v7, v7, v10, vcc_lo
	v_lshlrev_b32_e32 v7, 7, v7
	s_delay_alu instid0(VALU_DEP_1)
	v_or3_b32 v7, v3, v8, v7
	s_branch .LBB5_3
.LBB5_12:
	s_delay_alu instid0(VALU_DEP_1)
	v_cvt_f16_f32_e32 v2, v6
	s_branch .LBB5_14
.LBB5_13:
	v_mov_b32_e32 v2, 0
.LBB5_14:
	s_delay_alu instid0(VALU_DEP_1) | instskip(NEXT) | instid1(VALU_DEP_1)
	v_mad_u64_u32 v[3:4], null, v0, s5, v[1:2]
	v_ashrrev_i32_e32 v4, 31, v3
	s_delay_alu instid0(VALU_DEP_1) | instskip(SKIP_1) | instid1(VALU_DEP_1)
	v_lshlrev_b64 v[0:1], 1, v[3:4]
	s_waitcnt lgkmcnt(0)
	v_add_co_u32 v0, vcc_lo, s8, v0
	s_delay_alu instid0(VALU_DEP_2)
	v_add_co_ci_u32_e32 v1, vcc_lo, s9, v1, vcc_lo
	global_store_b16 v[0:1], v2, off
.LBB5_15:
	s_nop 0
	s_sendmsg sendmsg(MSG_DEALLOC_VGPRS)
	s_endpgm
	.section	.rodata,"a",@progbits
	.p2align	6, 0x0
	.amdhsa_kernel _ZN2ck17naive_gemm_kernelINS_13tensor_layout4gemm8RowMajorENS2_11ColumnMajorES3_NS_9f8_fnuz_tEDF16_DF16_fNS_16tensor_operation12element_wise11PassThroughES8_S8_DF16_DF16_EEvPKT2_PKT3_PT4_iiiT6_T7_T8_
		.amdhsa_group_segment_fixed_size 0
		.amdhsa_private_segment_fixed_size 0
		.amdhsa_kernarg_size 296
		.amdhsa_user_sgpr_count 14
		.amdhsa_user_sgpr_dispatch_ptr 0
		.amdhsa_user_sgpr_queue_ptr 0
		.amdhsa_user_sgpr_kernarg_segment_ptr 1
		.amdhsa_user_sgpr_dispatch_id 0
		.amdhsa_user_sgpr_private_segment_size 0
		.amdhsa_wavefront_size32 1
		.amdhsa_uses_dynamic_stack 0
		.amdhsa_enable_private_segment 0
		.amdhsa_system_sgpr_workgroup_id_x 1
		.amdhsa_system_sgpr_workgroup_id_y 1
		.amdhsa_system_sgpr_workgroup_id_z 0
		.amdhsa_system_sgpr_workgroup_info 0
		.amdhsa_system_vgpr_workitem_id 1
		.amdhsa_next_free_vgpr 12
		.amdhsa_next_free_sgpr 16
		.amdhsa_reserve_vcc 1
		.amdhsa_float_round_mode_32 0
		.amdhsa_float_round_mode_16_64 0
		.amdhsa_float_denorm_mode_32 3
		.amdhsa_float_denorm_mode_16_64 3
		.amdhsa_dx10_clamp 1
		.amdhsa_ieee_mode 1
		.amdhsa_fp16_overflow 0
		.amdhsa_workgroup_processor_mode 1
		.amdhsa_memory_ordered 1
		.amdhsa_forward_progress 0
		.amdhsa_shared_vgpr_count 0
		.amdhsa_exception_fp_ieee_invalid_op 0
		.amdhsa_exception_fp_denorm_src 0
		.amdhsa_exception_fp_ieee_div_zero 0
		.amdhsa_exception_fp_ieee_overflow 0
		.amdhsa_exception_fp_ieee_underflow 0
		.amdhsa_exception_fp_ieee_inexact 0
		.amdhsa_exception_int_div_zero 0
	.end_amdhsa_kernel
	.section	.text._ZN2ck17naive_gemm_kernelINS_13tensor_layout4gemm8RowMajorENS2_11ColumnMajorES3_NS_9f8_fnuz_tEDF16_DF16_fNS_16tensor_operation12element_wise11PassThroughES8_S8_DF16_DF16_EEvPKT2_PKT3_PT4_iiiT6_T7_T8_,"axG",@progbits,_ZN2ck17naive_gemm_kernelINS_13tensor_layout4gemm8RowMajorENS2_11ColumnMajorES3_NS_9f8_fnuz_tEDF16_DF16_fNS_16tensor_operation12element_wise11PassThroughES8_S8_DF16_DF16_EEvPKT2_PKT3_PT4_iiiT6_T7_T8_,comdat
.Lfunc_end5:
	.size	_ZN2ck17naive_gemm_kernelINS_13tensor_layout4gemm8RowMajorENS2_11ColumnMajorES3_NS_9f8_fnuz_tEDF16_DF16_fNS_16tensor_operation12element_wise11PassThroughES8_S8_DF16_DF16_EEvPKT2_PKT3_PT4_iiiT6_T7_T8_, .Lfunc_end5-_ZN2ck17naive_gemm_kernelINS_13tensor_layout4gemm8RowMajorENS2_11ColumnMajorES3_NS_9f8_fnuz_tEDF16_DF16_fNS_16tensor_operation12element_wise11PassThroughES8_S8_DF16_DF16_EEvPKT2_PKT3_PT4_iiiT6_T7_T8_
                                        ; -- End function
	.section	.AMDGPU.csdata,"",@progbits
; Kernel info:
; codeLenInByte = 628
; NumSgprs: 18
; NumVgprs: 12
; ScratchSize: 0
; MemoryBound: 0
; FloatMode: 240
; IeeeMode: 1
; LDSByteSize: 0 bytes/workgroup (compile time only)
; SGPRBlocks: 2
; VGPRBlocks: 1
; NumSGPRsForWavesPerEU: 18
; NumVGPRsForWavesPerEU: 12
; Occupancy: 16
; WaveLimiterHint : 0
; COMPUTE_PGM_RSRC2:SCRATCH_EN: 0
; COMPUTE_PGM_RSRC2:USER_SGPR: 14
; COMPUTE_PGM_RSRC2:TRAP_HANDLER: 0
; COMPUTE_PGM_RSRC2:TGID_X_EN: 1
; COMPUTE_PGM_RSRC2:TGID_Y_EN: 1
; COMPUTE_PGM_RSRC2:TGID_Z_EN: 0
; COMPUTE_PGM_RSRC2:TIDIG_COMP_CNT: 1
	.text
	.p2alignl 7, 3214868480
	.fill 96, 4, 3214868480
	.type	__hip_cuid_61dba412f93befa,@object ; @__hip_cuid_61dba412f93befa
	.section	.bss,"aw",@nobits
	.globl	__hip_cuid_61dba412f93befa
__hip_cuid_61dba412f93befa:
	.byte	0                               ; 0x0
	.size	__hip_cuid_61dba412f93befa, 1

	.ident	"AMD clang version 19.0.0git (https://github.com/RadeonOpenCompute/llvm-project roc-6.4.0 25133 c7fe45cf4b819c5991fe208aaa96edf142730f1d)"
	.section	".note.GNU-stack","",@progbits
	.addrsig
	.addrsig_sym __hip_cuid_61dba412f93befa
	.amdgpu_metadata
---
amdhsa.kernels:
  - .args:           []
    .group_segment_fixed_size: 0
    .kernarg_segment_align: 4
    .kernarg_segment_size: 0
    .language:       OpenCL C
    .language_version:
      - 2
      - 0
    .max_flat_workgroup_size: 1024
    .name:           _ZN2ckL12flush_icacheEv
    .private_segment_fixed_size: 0
    .sgpr_count:     0
    .sgpr_spill_count: 0
    .symbol:         _ZN2ckL12flush_icacheEv.kd
    .uniform_work_group_size: 1
    .uses_dynamic_stack: false
    .vgpr_count:     0
    .vgpr_spill_count: 0
    .wavefront_size: 32
    .workgroup_processor_mode: 1
  - .args:
      - .offset:         0
        .size:           96
        .value_kind:     by_value
    .group_segment_fixed_size: 0
    .kernarg_segment_align: 8
    .kernarg_segment_size: 96
    .language:       OpenCL C
    .language_version:
      - 2
      - 0
    .max_flat_workgroup_size: 256
    .name:           _ZN2ck27kernel_gemm_xdl_cshuffle_v1INS_43GridwiseGemm_k0mk1_k0nk1_mn_xdl_cshuffle_v1INS_13tensor_layout4gemm8RowMajorENS3_11ColumnMajorES4_NS_9f8_fnuz_tEDF16_fDF16_DF16_NS_16tensor_operation12element_wise11PassThroughES9_S9_LNS7_6device18GemmSpecializationE0ELNS_25InMemoryDataOperationEnumE0ELi1ELi256ELi256ELi128ELi32ELi8ELi8ELi16ELi16ELi8ELi4ENS_8SequenceIJLi4ELi64ELi1EEEENSD_IJLi1ELi0ELi2EEEESF_Li2ELi8ELi8ELb0ELi1ESE_SF_SF_Li2ELi8ELi8ELb0ELi1ELi1ELi1ENSD_IJLi1ELi32ELi1ELi8EEEELi4ELNS_13LoopSchedulerE0ELNS_15PipelineVersionE0EDF16_DF16_EELb1EEEvNT_8ArgumentE
    .private_segment_fixed_size: 0
    .sgpr_count:     0
    .sgpr_spill_count: 0
    .symbol:         _ZN2ck27kernel_gemm_xdl_cshuffle_v1INS_43GridwiseGemm_k0mk1_k0nk1_mn_xdl_cshuffle_v1INS_13tensor_layout4gemm8RowMajorENS3_11ColumnMajorES4_NS_9f8_fnuz_tEDF16_fDF16_DF16_NS_16tensor_operation12element_wise11PassThroughES9_S9_LNS7_6device18GemmSpecializationE0ELNS_25InMemoryDataOperationEnumE0ELi1ELi256ELi256ELi128ELi32ELi8ELi8ELi16ELi16ELi8ELi4ENS_8SequenceIJLi4ELi64ELi1EEEENSD_IJLi1ELi0ELi2EEEESF_Li2ELi8ELi8ELb0ELi1ESE_SF_SF_Li2ELi8ELi8ELb0ELi1ELi1ELi1ENSD_IJLi1ELi32ELi1ELi8EEEELi4ELNS_13LoopSchedulerE0ELNS_15PipelineVersionE0EDF16_DF16_EELb1EEEvNT_8ArgumentE.kd
    .uniform_work_group_size: 1
    .uses_dynamic_stack: false
    .vgpr_count:     0
    .vgpr_spill_count: 0
    .wavefront_size: 32
    .workgroup_processor_mode: 1
  - .args:
      - .offset:         0
        .size:           96
        .value_kind:     by_value
    .group_segment_fixed_size: 0
    .kernarg_segment_align: 8
    .kernarg_segment_size: 96
    .language:       OpenCL C
    .language_version:
      - 2
      - 0
    .max_flat_workgroup_size: 256
    .name:           _ZN2ck27kernel_gemm_xdl_cshuffle_v1INS_43GridwiseGemm_k0mk1_k0nk1_mn_xdl_cshuffle_v1INS_13tensor_layout4gemm8RowMajorENS3_11ColumnMajorES4_NS_9f8_fnuz_tEDF16_fDF16_DF16_NS_16tensor_operation12element_wise11PassThroughES9_S9_LNS7_6device18GemmSpecializationE0ELNS_25InMemoryDataOperationEnumE0ELi1ELi256ELi256ELi128ELi32ELi8ELi8ELi16ELi16ELi8ELi4ENS_8SequenceIJLi4ELi64ELi1EEEENSD_IJLi1ELi0ELi2EEEESF_Li2ELi8ELi8ELb0ELi1ESE_SF_SF_Li2ELi8ELi8ELb0ELi1ELi1ELi1ENSD_IJLi1ELi32ELi1ELi8EEEELi4ELNS_13LoopSchedulerE0ELNS_15PipelineVersionE0EDF16_DF16_EELb0EEEvNT_8ArgumentE
    .private_segment_fixed_size: 0
    .sgpr_count:     0
    .sgpr_spill_count: 0
    .symbol:         _ZN2ck27kernel_gemm_xdl_cshuffle_v1INS_43GridwiseGemm_k0mk1_k0nk1_mn_xdl_cshuffle_v1INS_13tensor_layout4gemm8RowMajorENS3_11ColumnMajorES4_NS_9f8_fnuz_tEDF16_fDF16_DF16_NS_16tensor_operation12element_wise11PassThroughES9_S9_LNS7_6device18GemmSpecializationE0ELNS_25InMemoryDataOperationEnumE0ELi1ELi256ELi256ELi128ELi32ELi8ELi8ELi16ELi16ELi8ELi4ENS_8SequenceIJLi4ELi64ELi1EEEENSD_IJLi1ELi0ELi2EEEESF_Li2ELi8ELi8ELb0ELi1ESE_SF_SF_Li2ELi8ELi8ELb0ELi1ELi1ELi1ENSD_IJLi1ELi32ELi1ELi8EEEELi4ELNS_13LoopSchedulerE0ELNS_15PipelineVersionE0EDF16_DF16_EELb0EEEvNT_8ArgumentE.kd
    .uniform_work_group_size: 1
    .uses_dynamic_stack: false
    .vgpr_count:     0
    .vgpr_spill_count: 0
    .wavefront_size: 32
    .workgroup_processor_mode: 1
  - .args:
      - .offset:         0
        .size:           96
        .value_kind:     by_value
    .group_segment_fixed_size: 24672
    .kernarg_segment_align: 8
    .kernarg_segment_size: 96
    .language:       OpenCL C
    .language_version:
      - 2
      - 0
    .max_flat_workgroup_size: 256
    .name:           _ZN2ck27kernel_gemm_xdl_cshuffle_v1INS_43GridwiseGemm_k0mk1_k0nk1_mn_xdl_cshuffle_v1INS_13tensor_layout4gemm8RowMajorENS3_11ColumnMajorES4_NS_9f8_fnuz_tEDF16_fDF16_DF16_NS_16tensor_operation12element_wise11PassThroughES9_S9_LNS7_6device18GemmSpecializationE0ELNS_25InMemoryDataOperationEnumE0ELi1ELi256ELi256ELi128ELi32ELi8ELi8ELi16ELi16ELi8ELi2ENS_8SequenceIJLi4ELi64ELi1EEEENSD_IJLi1ELi0ELi2EEEESF_Li2ELi8ELi8ELb0ELi1ESE_SF_SF_Li2ELi8ELi8ELb0ELi1ELi1ELi1ENSD_IJLi1ELi32ELi1ELi8EEEELi4ELNS_13LoopSchedulerE0ELNS_15PipelineVersionE0EDF16_DF16_EELb1EEEvNT_8ArgumentE
    .private_segment_fixed_size: 0
    .sgpr_count:     24
    .sgpr_spill_count: 0
    .symbol:         _ZN2ck27kernel_gemm_xdl_cshuffle_v1INS_43GridwiseGemm_k0mk1_k0nk1_mn_xdl_cshuffle_v1INS_13tensor_layout4gemm8RowMajorENS3_11ColumnMajorES4_NS_9f8_fnuz_tEDF16_fDF16_DF16_NS_16tensor_operation12element_wise11PassThroughES9_S9_LNS7_6device18GemmSpecializationE0ELNS_25InMemoryDataOperationEnumE0ELi1ELi256ELi256ELi128ELi32ELi8ELi8ELi16ELi16ELi8ELi2ENS_8SequenceIJLi4ELi64ELi1EEEENSD_IJLi1ELi0ELi2EEEESF_Li2ELi8ELi8ELb0ELi1ESE_SF_SF_Li2ELi8ELi8ELb0ELi1ELi1ELi1ENSD_IJLi1ELi32ELi1ELi8EEEELi4ELNS_13LoopSchedulerE0ELNS_15PipelineVersionE0EDF16_DF16_EELb1EEEvNT_8ArgumentE.kd
    .uniform_work_group_size: 1
    .uses_dynamic_stack: false
    .vgpr_count:     204
    .vgpr_spill_count: 0
    .wavefront_size: 32
    .workgroup_processor_mode: 1
  - .args:
      - .offset:         0
        .size:           96
        .value_kind:     by_value
    .group_segment_fixed_size: 24672
    .kernarg_segment_align: 8
    .kernarg_segment_size: 96
    .language:       OpenCL C
    .language_version:
      - 2
      - 0
    .max_flat_workgroup_size: 256
    .name:           _ZN2ck27kernel_gemm_xdl_cshuffle_v1INS_43GridwiseGemm_k0mk1_k0nk1_mn_xdl_cshuffle_v1INS_13tensor_layout4gemm8RowMajorENS3_11ColumnMajorES4_NS_9f8_fnuz_tEDF16_fDF16_DF16_NS_16tensor_operation12element_wise11PassThroughES9_S9_LNS7_6device18GemmSpecializationE0ELNS_25InMemoryDataOperationEnumE0ELi1ELi256ELi256ELi128ELi32ELi8ELi8ELi16ELi16ELi8ELi2ENS_8SequenceIJLi4ELi64ELi1EEEENSD_IJLi1ELi0ELi2EEEESF_Li2ELi8ELi8ELb0ELi1ESE_SF_SF_Li2ELi8ELi8ELb0ELi1ELi1ELi1ENSD_IJLi1ELi32ELi1ELi8EEEELi4ELNS_13LoopSchedulerE0ELNS_15PipelineVersionE0EDF16_DF16_EELb0EEEvNT_8ArgumentE
    .private_segment_fixed_size: 0
    .sgpr_count:     23
    .sgpr_spill_count: 0
    .symbol:         _ZN2ck27kernel_gemm_xdl_cshuffle_v1INS_43GridwiseGemm_k0mk1_k0nk1_mn_xdl_cshuffle_v1INS_13tensor_layout4gemm8RowMajorENS3_11ColumnMajorES4_NS_9f8_fnuz_tEDF16_fDF16_DF16_NS_16tensor_operation12element_wise11PassThroughES9_S9_LNS7_6device18GemmSpecializationE0ELNS_25InMemoryDataOperationEnumE0ELi1ELi256ELi256ELi128ELi32ELi8ELi8ELi16ELi16ELi8ELi2ENS_8SequenceIJLi4ELi64ELi1EEEENSD_IJLi1ELi0ELi2EEEESF_Li2ELi8ELi8ELb0ELi1ESE_SF_SF_Li2ELi8ELi8ELb0ELi1ELi1ELi1ENSD_IJLi1ELi32ELi1ELi8EEEELi4ELNS_13LoopSchedulerE0ELNS_15PipelineVersionE0EDF16_DF16_EELb0EEEvNT_8ArgumentE.kd
    .uniform_work_group_size: 1
    .uses_dynamic_stack: false
    .vgpr_count:     184
    .vgpr_spill_count: 0
    .wavefront_size: 32
    .workgroup_processor_mode: 1
  - .args:
      - .actual_access:  read_only
        .address_space:  global
        .offset:         0
        .size:           8
        .value_kind:     global_buffer
      - .actual_access:  read_only
        .address_space:  global
        .offset:         8
        .size:           8
        .value_kind:     global_buffer
      - .actual_access:  write_only
        .address_space:  global
        .offset:         16
        .size:           8
        .value_kind:     global_buffer
      - .offset:         24
        .size:           4
        .value_kind:     by_value
      - .offset:         28
        .size:           4
        .value_kind:     by_value
      - .offset:         32
        .size:           4
        .value_kind:     by_value
      - .offset:         36
        .size:           1
        .value_kind:     by_value
      - .offset:         37
        .size:           1
        .value_kind:     by_value
      - .offset:         38
        .size:           1
        .value_kind:     by_value
      - .offset:         40
        .size:           4
        .value_kind:     hidden_block_count_x
      - .offset:         44
        .size:           4
        .value_kind:     hidden_block_count_y
      - .offset:         48
        .size:           4
        .value_kind:     hidden_block_count_z
      - .offset:         52
        .size:           2
        .value_kind:     hidden_group_size_x
      - .offset:         54
        .size:           2
        .value_kind:     hidden_group_size_y
      - .offset:         56
        .size:           2
        .value_kind:     hidden_group_size_z
      - .offset:         58
        .size:           2
        .value_kind:     hidden_remainder_x
      - .offset:         60
        .size:           2
        .value_kind:     hidden_remainder_y
      - .offset:         62
        .size:           2
        .value_kind:     hidden_remainder_z
      - .offset:         80
        .size:           8
        .value_kind:     hidden_global_offset_x
      - .offset:         88
        .size:           8
        .value_kind:     hidden_global_offset_y
      - .offset:         96
        .size:           8
        .value_kind:     hidden_global_offset_z
      - .offset:         104
        .size:           2
        .value_kind:     hidden_grid_dims
    .group_segment_fixed_size: 0
    .kernarg_segment_align: 8
    .kernarg_segment_size: 296
    .language:       OpenCL C
    .language_version:
      - 2
      - 0
    .max_flat_workgroup_size: 256
    .name:           _ZN2ck17naive_gemm_kernelINS_13tensor_layout4gemm8RowMajorENS2_11ColumnMajorES3_NS_9f8_fnuz_tEDF16_DF16_fNS_16tensor_operation12element_wise11PassThroughES8_S8_DF16_DF16_EEvPKT2_PKT3_PT4_iiiT6_T7_T8_
    .private_segment_fixed_size: 0
    .sgpr_count:     18
    .sgpr_spill_count: 0
    .symbol:         _ZN2ck17naive_gemm_kernelINS_13tensor_layout4gemm8RowMajorENS2_11ColumnMajorES3_NS_9f8_fnuz_tEDF16_DF16_fNS_16tensor_operation12element_wise11PassThroughES8_S8_DF16_DF16_EEvPKT2_PKT3_PT4_iiiT6_T7_T8_.kd
    .uniform_work_group_size: 1
    .uses_dynamic_stack: false
    .vgpr_count:     12
    .vgpr_spill_count: 0
    .wavefront_size: 32
    .workgroup_processor_mode: 1
amdhsa.target:   amdgcn-amd-amdhsa--gfx1100
amdhsa.version:
  - 1
  - 2
...

	.end_amdgpu_metadata
